;; amdgpu-corpus repo=ROCm/rocFFT kind=compiled arch=gfx1201 opt=O3
	.text
	.amdgcn_target "amdgcn-amd-amdhsa--gfx1201"
	.amdhsa_code_object_version 6
	.protected	fft_rtc_fwd_len1575_factors_3_3_5_7_5_wgs_63_tpt_63_halfLds_dp_op_CI_CI_unitstride_sbrr_dirReg ; -- Begin function fft_rtc_fwd_len1575_factors_3_3_5_7_5_wgs_63_tpt_63_halfLds_dp_op_CI_CI_unitstride_sbrr_dirReg
	.globl	fft_rtc_fwd_len1575_factors_3_3_5_7_5_wgs_63_tpt_63_halfLds_dp_op_CI_CI_unitstride_sbrr_dirReg
	.p2align	8
	.type	fft_rtc_fwd_len1575_factors_3_3_5_7_5_wgs_63_tpt_63_halfLds_dp_op_CI_CI_unitstride_sbrr_dirReg,@function
fft_rtc_fwd_len1575_factors_3_3_5_7_5_wgs_63_tpt_63_halfLds_dp_op_CI_CI_unitstride_sbrr_dirReg: ; @fft_rtc_fwd_len1575_factors_3_3_5_7_5_wgs_63_tpt_63_halfLds_dp_op_CI_CI_unitstride_sbrr_dirReg
; %bb.0:
	s_clause 0x2
	s_load_b128 s[8:11], s[0:1], 0x0
	s_load_b128 s[4:7], s[0:1], 0x58
	;; [unrolled: 1-line block ×3, first 2 shown]
	v_mul_u32_u24_e32 v1, 0x411, v0
	v_mov_b32_e32 v3, 0
	s_delay_alu instid0(VALU_DEP_2) | instskip(NEXT) | instid1(VALU_DEP_1)
	v_lshrrev_b32_e32 v1, 16, v1
	v_add_nc_u32_e32 v5, ttmp9, v1
	v_mov_b32_e32 v1, 0
	v_mov_b32_e32 v2, 0
	;; [unrolled: 1-line block ×3, first 2 shown]
	s_wait_kmcnt 0x0
	v_cmp_lt_u64_e64 s2, s[10:11], 2
	s_delay_alu instid0(VALU_DEP_1)
	s_and_b32 vcc_lo, exec_lo, s2
	s_cbranch_vccnz .LBB0_8
; %bb.1:
	s_load_b64 s[2:3], s[0:1], 0x10
	v_mov_b32_e32 v1, 0
	v_mov_b32_e32 v2, 0
	s_add_nc_u64 s[16:17], s[14:15], 8
	s_add_nc_u64 s[18:19], s[12:13], 8
	s_mov_b64 s[20:21], 1
	s_delay_alu instid0(VALU_DEP_1)
	v_dual_mov_b32 v155, v2 :: v_dual_mov_b32 v154, v1
	s_wait_kmcnt 0x0
	s_add_nc_u64 s[22:23], s[2:3], 8
	s_mov_b32 s3, 0
.LBB0_2:                                ; =>This Inner Loop Header: Depth=1
	s_load_b64 s[24:25], s[22:23], 0x0
                                        ; implicit-def: $vgpr156_vgpr157
	s_mov_b32 s2, exec_lo
	s_wait_kmcnt 0x0
	v_or_b32_e32 v4, s25, v6
	s_delay_alu instid0(VALU_DEP_1)
	v_cmpx_ne_u64_e32 0, v[3:4]
	s_wait_alu 0xfffe
	s_xor_b32 s26, exec_lo, s2
	s_cbranch_execz .LBB0_4
; %bb.3:                                ;   in Loop: Header=BB0_2 Depth=1
	s_cvt_f32_u32 s2, s24
	s_cvt_f32_u32 s27, s25
	s_sub_nc_u64 s[30:31], 0, s[24:25]
	s_wait_alu 0xfffe
	s_delay_alu instid0(SALU_CYCLE_1) | instskip(SKIP_1) | instid1(SALU_CYCLE_2)
	s_fmamk_f32 s2, s27, 0x4f800000, s2
	s_wait_alu 0xfffe
	v_s_rcp_f32 s2, s2
	s_delay_alu instid0(TRANS32_DEP_1) | instskip(SKIP_1) | instid1(SALU_CYCLE_2)
	s_mul_f32 s2, s2, 0x5f7ffffc
	s_wait_alu 0xfffe
	s_mul_f32 s27, s2, 0x2f800000
	s_wait_alu 0xfffe
	s_delay_alu instid0(SALU_CYCLE_2) | instskip(SKIP_1) | instid1(SALU_CYCLE_2)
	s_trunc_f32 s27, s27
	s_wait_alu 0xfffe
	s_fmamk_f32 s2, s27, 0xcf800000, s2
	s_cvt_u32_f32 s29, s27
	s_wait_alu 0xfffe
	s_delay_alu instid0(SALU_CYCLE_1) | instskip(SKIP_1) | instid1(SALU_CYCLE_2)
	s_cvt_u32_f32 s28, s2
	s_wait_alu 0xfffe
	s_mul_u64 s[34:35], s[30:31], s[28:29]
	s_wait_alu 0xfffe
	s_mul_hi_u32 s37, s28, s35
	s_mul_i32 s36, s28, s35
	s_mul_hi_u32 s2, s28, s34
	s_mul_i32 s33, s29, s34
	s_wait_alu 0xfffe
	s_add_nc_u64 s[36:37], s[2:3], s[36:37]
	s_mul_hi_u32 s27, s29, s34
	s_mul_hi_u32 s38, s29, s35
	s_add_co_u32 s2, s36, s33
	s_wait_alu 0xfffe
	s_add_co_ci_u32 s2, s37, s27
	s_mul_i32 s34, s29, s35
	s_add_co_ci_u32 s35, s38, 0
	s_wait_alu 0xfffe
	s_add_nc_u64 s[34:35], s[2:3], s[34:35]
	s_wait_alu 0xfffe
	v_add_co_u32 v4, s2, s28, s34
	s_delay_alu instid0(VALU_DEP_1) | instskip(SKIP_1) | instid1(VALU_DEP_1)
	s_cmp_lg_u32 s2, 0
	s_add_co_ci_u32 s29, s29, s35
	v_readfirstlane_b32 s28, v4
	s_wait_alu 0xfffe
	s_delay_alu instid0(VALU_DEP_1)
	s_mul_u64 s[30:31], s[30:31], s[28:29]
	s_wait_alu 0xfffe
	s_mul_hi_u32 s35, s28, s31
	s_mul_i32 s34, s28, s31
	s_mul_hi_u32 s2, s28, s30
	s_mul_i32 s33, s29, s30
	s_wait_alu 0xfffe
	s_add_nc_u64 s[34:35], s[2:3], s[34:35]
	s_mul_hi_u32 s27, s29, s30
	s_mul_hi_u32 s28, s29, s31
	s_wait_alu 0xfffe
	s_add_co_u32 s2, s34, s33
	s_add_co_ci_u32 s2, s35, s27
	s_mul_i32 s30, s29, s31
	s_add_co_ci_u32 s31, s28, 0
	s_wait_alu 0xfffe
	s_add_nc_u64 s[30:31], s[2:3], s[30:31]
	s_wait_alu 0xfffe
	v_add_co_u32 v4, s2, v4, s30
	s_delay_alu instid0(VALU_DEP_1) | instskip(SKIP_1) | instid1(VALU_DEP_1)
	s_cmp_lg_u32 s2, 0
	s_add_co_ci_u32 s2, s29, s31
	v_mul_hi_u32 v13, v5, v4
	s_wait_alu 0xfffe
	v_mad_co_u64_u32 v[7:8], null, v5, s2, 0
	v_mad_co_u64_u32 v[9:10], null, v6, v4, 0
	;; [unrolled: 1-line block ×3, first 2 shown]
	s_delay_alu instid0(VALU_DEP_3) | instskip(SKIP_1) | instid1(VALU_DEP_4)
	v_add_co_u32 v4, vcc_lo, v13, v7
	s_wait_alu 0xfffd
	v_add_co_ci_u32_e32 v7, vcc_lo, 0, v8, vcc_lo
	s_delay_alu instid0(VALU_DEP_2) | instskip(SKIP_1) | instid1(VALU_DEP_2)
	v_add_co_u32 v4, vcc_lo, v4, v9
	s_wait_alu 0xfffd
	v_add_co_ci_u32_e32 v4, vcc_lo, v7, v10, vcc_lo
	s_wait_alu 0xfffd
	v_add_co_ci_u32_e32 v7, vcc_lo, 0, v12, vcc_lo
	s_delay_alu instid0(VALU_DEP_2) | instskip(SKIP_1) | instid1(VALU_DEP_2)
	v_add_co_u32 v4, vcc_lo, v4, v11
	s_wait_alu 0xfffd
	v_add_co_ci_u32_e32 v9, vcc_lo, 0, v7, vcc_lo
	s_delay_alu instid0(VALU_DEP_2) | instskip(SKIP_1) | instid1(VALU_DEP_3)
	v_mul_lo_u32 v10, s25, v4
	v_mad_co_u64_u32 v[7:8], null, s24, v4, 0
	v_mul_lo_u32 v11, s24, v9
	s_delay_alu instid0(VALU_DEP_2) | instskip(NEXT) | instid1(VALU_DEP_2)
	v_sub_co_u32 v7, vcc_lo, v5, v7
	v_add3_u32 v8, v8, v11, v10
	s_delay_alu instid0(VALU_DEP_1) | instskip(SKIP_1) | instid1(VALU_DEP_1)
	v_sub_nc_u32_e32 v10, v6, v8
	s_wait_alu 0xfffd
	v_subrev_co_ci_u32_e64 v10, s2, s25, v10, vcc_lo
	v_add_co_u32 v11, s2, v4, 2
	s_wait_alu 0xf1ff
	v_add_co_ci_u32_e64 v12, s2, 0, v9, s2
	v_sub_co_u32 v13, s2, v7, s24
	v_sub_co_ci_u32_e32 v8, vcc_lo, v6, v8, vcc_lo
	s_wait_alu 0xf1ff
	v_subrev_co_ci_u32_e64 v10, s2, 0, v10, s2
	s_delay_alu instid0(VALU_DEP_3) | instskip(NEXT) | instid1(VALU_DEP_3)
	v_cmp_le_u32_e32 vcc_lo, s24, v13
	v_cmp_eq_u32_e64 s2, s25, v8
	s_wait_alu 0xfffd
	v_cndmask_b32_e64 v13, 0, -1, vcc_lo
	v_cmp_le_u32_e32 vcc_lo, s25, v10
	s_wait_alu 0xfffd
	v_cndmask_b32_e64 v14, 0, -1, vcc_lo
	v_cmp_le_u32_e32 vcc_lo, s24, v7
	;; [unrolled: 3-line block ×3, first 2 shown]
	s_wait_alu 0xfffd
	v_cndmask_b32_e64 v15, 0, -1, vcc_lo
	v_cmp_eq_u32_e32 vcc_lo, s25, v10
	s_wait_alu 0xf1ff
	s_delay_alu instid0(VALU_DEP_2)
	v_cndmask_b32_e64 v7, v15, v7, s2
	s_wait_alu 0xfffd
	v_cndmask_b32_e32 v10, v14, v13, vcc_lo
	v_add_co_u32 v13, vcc_lo, v4, 1
	s_wait_alu 0xfffd
	v_add_co_ci_u32_e32 v14, vcc_lo, 0, v9, vcc_lo
	s_delay_alu instid0(VALU_DEP_3) | instskip(SKIP_1) | instid1(VALU_DEP_2)
	v_cmp_ne_u32_e32 vcc_lo, 0, v10
	s_wait_alu 0xfffd
	v_cndmask_b32_e32 v8, v14, v12, vcc_lo
	v_cndmask_b32_e32 v10, v13, v11, vcc_lo
	v_cmp_ne_u32_e32 vcc_lo, 0, v7
	s_wait_alu 0xfffd
	s_delay_alu instid0(VALU_DEP_2)
	v_dual_cndmask_b32 v157, v9, v8 :: v_dual_cndmask_b32 v156, v4, v10
.LBB0_4:                                ;   in Loop: Header=BB0_2 Depth=1
	s_wait_alu 0xfffe
	s_and_not1_saveexec_b32 s2, s26
	s_cbranch_execz .LBB0_6
; %bb.5:                                ;   in Loop: Header=BB0_2 Depth=1
	v_cvt_f32_u32_e32 v4, s24
	s_sub_co_i32 s26, 0, s24
	v_mov_b32_e32 v157, v3
	s_delay_alu instid0(VALU_DEP_2) | instskip(NEXT) | instid1(TRANS32_DEP_1)
	v_rcp_iflag_f32_e32 v4, v4
	v_mul_f32_e32 v4, 0x4f7ffffe, v4
	s_delay_alu instid0(VALU_DEP_1) | instskip(SKIP_1) | instid1(VALU_DEP_1)
	v_cvt_u32_f32_e32 v4, v4
	s_wait_alu 0xfffe
	v_mul_lo_u32 v7, s26, v4
	s_delay_alu instid0(VALU_DEP_1) | instskip(NEXT) | instid1(VALU_DEP_1)
	v_mul_hi_u32 v7, v4, v7
	v_add_nc_u32_e32 v4, v4, v7
	s_delay_alu instid0(VALU_DEP_1) | instskip(NEXT) | instid1(VALU_DEP_1)
	v_mul_hi_u32 v4, v5, v4
	v_mul_lo_u32 v7, v4, s24
	v_add_nc_u32_e32 v8, 1, v4
	s_delay_alu instid0(VALU_DEP_2) | instskip(NEXT) | instid1(VALU_DEP_1)
	v_sub_nc_u32_e32 v7, v5, v7
	v_subrev_nc_u32_e32 v9, s24, v7
	v_cmp_le_u32_e32 vcc_lo, s24, v7
	s_wait_alu 0xfffd
	s_delay_alu instid0(VALU_DEP_2) | instskip(NEXT) | instid1(VALU_DEP_1)
	v_dual_cndmask_b32 v7, v7, v9 :: v_dual_cndmask_b32 v4, v4, v8
	v_cmp_le_u32_e32 vcc_lo, s24, v7
	s_delay_alu instid0(VALU_DEP_2) | instskip(SKIP_1) | instid1(VALU_DEP_1)
	v_add_nc_u32_e32 v8, 1, v4
	s_wait_alu 0xfffd
	v_cndmask_b32_e32 v156, v4, v8, vcc_lo
.LBB0_6:                                ;   in Loop: Header=BB0_2 Depth=1
	s_wait_alu 0xfffe
	s_or_b32 exec_lo, exec_lo, s2
	v_mul_lo_u32 v4, v157, s24
	s_delay_alu instid0(VALU_DEP_2)
	v_mul_lo_u32 v9, v156, s25
	s_load_b64 s[26:27], s[18:19], 0x0
	v_mad_co_u64_u32 v[7:8], null, v156, s24, 0
	s_load_b64 s[24:25], s[16:17], 0x0
	s_add_nc_u64 s[20:21], s[20:21], 1
	s_add_nc_u64 s[16:17], s[16:17], 8
	s_wait_alu 0xfffe
	v_cmp_ge_u64_e64 s2, s[20:21], s[10:11]
	s_add_nc_u64 s[18:19], s[18:19], 8
	s_add_nc_u64 s[22:23], s[22:23], 8
	v_add3_u32 v4, v8, v9, v4
	v_sub_co_u32 v5, vcc_lo, v5, v7
	s_wait_alu 0xfffd
	s_delay_alu instid0(VALU_DEP_2) | instskip(SKIP_2) | instid1(VALU_DEP_1)
	v_sub_co_ci_u32_e32 v4, vcc_lo, v6, v4, vcc_lo
	s_and_b32 vcc_lo, exec_lo, s2
	s_wait_kmcnt 0x0
	v_mul_lo_u32 v6, s26, v4
	v_mul_lo_u32 v7, s27, v5
	v_mad_co_u64_u32 v[1:2], null, s26, v5, v[1:2]
	v_mul_lo_u32 v4, s24, v4
	v_mul_lo_u32 v8, s25, v5
	v_mad_co_u64_u32 v[154:155], null, s24, v5, v[154:155]
	s_delay_alu instid0(VALU_DEP_4) | instskip(NEXT) | instid1(VALU_DEP_2)
	v_add3_u32 v2, v7, v2, v6
	v_add3_u32 v155, v8, v155, v4
	s_wait_alu 0xfffe
	s_cbranch_vccnz .LBB0_9
; %bb.7:                                ;   in Loop: Header=BB0_2 Depth=1
	v_dual_mov_b32 v5, v156 :: v_dual_mov_b32 v6, v157
	s_branch .LBB0_2
.LBB0_8:
	v_dual_mov_b32 v155, v2 :: v_dual_mov_b32 v154, v1
	v_dual_mov_b32 v157, v6 :: v_dual_mov_b32 v156, v5
.LBB0_9:
	s_load_b64 s[0:1], s[0:1], 0x28
	v_mul_hi_u32 v3, 0x4104105, v0
	s_lshl_b64 s[10:11], s[10:11], 3
                                        ; implicit-def: $vgpr158
	s_wait_alu 0xfffe
	s_add_nc_u64 s[2:3], s[14:15], s[10:11]
	s_wait_kmcnt 0x0
	v_cmp_gt_u64_e32 vcc_lo, s[0:1], v[156:157]
	v_cmp_le_u64_e64 s0, s[0:1], v[156:157]
	s_delay_alu instid0(VALU_DEP_1)
	s_and_saveexec_b32 s1, s0
	s_wait_alu 0xfffe
	s_xor_b32 s0, exec_lo, s1
; %bb.10:
	v_mul_u32_u24_e32 v1, 63, v3
                                        ; implicit-def: $vgpr3
	s_delay_alu instid0(VALU_DEP_1)
	v_sub_nc_u32_e32 v158, v0, v1
                                        ; implicit-def: $vgpr0
                                        ; implicit-def: $vgpr1_vgpr2
; %bb.11:
	s_wait_alu 0xfffe
	s_or_saveexec_b32 s1, s0
	s_load_b64 s[2:3], s[2:3], 0x0
                                        ; implicit-def: $vgpr108_vgpr109
                                        ; implicit-def: $vgpr128_vgpr129
                                        ; implicit-def: $vgpr54_vgpr55
                                        ; implicit-def: $vgpr18_vgpr19
                                        ; implicit-def: $vgpr58_vgpr59
                                        ; implicit-def: $vgpr50_vgpr51
                                        ; implicit-def: $vgpr26_vgpr27
                                        ; implicit-def: $vgpr74_vgpr75
                                        ; implicit-def: $vgpr66_vgpr67
                                        ; implicit-def: $vgpr22_vgpr23
                                        ; implicit-def: $vgpr70_vgpr71
                                        ; implicit-def: $vgpr62_vgpr63
                                        ; implicit-def: $vgpr34_vgpr35
                                        ; implicit-def: $vgpr94_vgpr95
                                        ; implicit-def: $vgpr82_vgpr83
                                        ; implicit-def: $vgpr30_vgpr31
                                        ; implicit-def: $vgpr90_vgpr91
                                        ; implicit-def: $vgpr78_vgpr79
                                        ; implicit-def: $vgpr42_vgpr43
                                        ; implicit-def: $vgpr124_vgpr125
                                        ; implicit-def: $vgpr104_vgpr105
                                        ; implicit-def: $vgpr38_vgpr39
                                        ; implicit-def: $vgpr120_vgpr121
                                        ; implicit-def: $vgpr100_vgpr101
                                        ; implicit-def: $vgpr46_vgpr47
                                        ; implicit-def: $vgpr148_vgpr149
                                        ; implicit-def: $vgpr132_vgpr133
	s_xor_b32 exec_lo, exec_lo, s1
	s_cbranch_execz .LBB0_15
; %bb.12:
	s_add_nc_u64 s[10:11], s[12:13], s[10:11]
	v_lshlrev_b64_e32 v[1:2], 4, v[1:2]
	s_load_b64 s[10:11], s[10:11], 0x0
                                        ; implicit-def: $vgpr52_vgpr53
                                        ; implicit-def: $vgpr126_vgpr127
                                        ; implicit-def: $vgpr106_vgpr107
	s_wait_kmcnt 0x0
	v_mul_lo_u32 v6, s11, v156
	v_mul_lo_u32 v7, s10, v157
	v_mad_co_u64_u32 v[4:5], null, s10, v156, 0
	s_delay_alu instid0(VALU_DEP_1) | instskip(SKIP_1) | instid1(VALU_DEP_2)
	v_add3_u32 v5, v5, v7, v6
	v_mul_u32_u24_e32 v6, 63, v3
	v_lshlrev_b64_e32 v[3:4], 4, v[4:5]
	s_delay_alu instid0(VALU_DEP_2) | instskip(NEXT) | instid1(VALU_DEP_2)
	v_sub_nc_u32_e32 v158, v0, v6
	v_add_co_u32 v0, s0, s4, v3
	s_wait_alu 0xf1ff
	s_delay_alu instid0(VALU_DEP_3) | instskip(NEXT) | instid1(VALU_DEP_3)
	v_add_co_ci_u32_e64 v3, s0, s5, v4, s0
	v_lshlrev_b32_e32 v4, 4, v158
	s_delay_alu instid0(VALU_DEP_3) | instskip(SKIP_1) | instid1(VALU_DEP_3)
	v_add_co_u32 v0, s0, v0, v1
	s_wait_alu 0xf1ff
	v_add_co_ci_u32_e64 v1, s0, v3, v2, s0
	s_mov_b32 s4, exec_lo
	s_delay_alu instid0(VALU_DEP_2) | instskip(SKIP_1) | instid1(VALU_DEP_2)
	v_add_co_u32 v0, s0, v0, v4
	s_wait_alu 0xf1ff
	v_add_co_ci_u32_e64 v1, s0, 0, v1, s0
	s_clause 0x17
	global_load_b128 v[130:133], v[0:1], off
	global_load_b128 v[98:101], v[0:1], off offset:1008
	global_load_b128 v[146:149], v[0:1], off offset:8400
	;; [unrolled: 1-line block ×23, first 2 shown]
	v_cmpx_gt_u32_e32 21, v158
; %bb.13:
	s_clause 0x2
	global_load_b128 v[52:55], v[0:1], off offset:8064
	global_load_b128 v[126:129], v[0:1], off offset:16464
	;; [unrolled: 1-line block ×3, first 2 shown]
; %bb.14:
	s_wait_alu 0xfffe
	s_or_b32 exec_lo, exec_lo, s4
.LBB0_15:
	s_delay_alu instid0(SALU_CYCLE_1)
	s_or_b32 exec_lo, exec_lo, s1
	s_wait_loadcnt 0xd
	v_add_f64_e32 v[0:1], v[40:41], v[122:123]
	s_wait_loadcnt 0xc
	v_add_f64_e32 v[2:3], v[28:29], v[88:89]
	;; [unrolled: 2-line block ×5, first 2 shown]
	v_add_f64_e32 v[84:85], v[106:107], v[126:127]
	v_add_f64_e32 v[6:7], v[44:45], v[146:147]
	;; [unrolled: 1-line block ×4, first 2 shown]
	v_add_f64_e64 v[86:87], v[124:125], -v[42:43]
	v_add_f64_e64 v[96:97], v[90:91], -v[30:31]
	v_add_f64_e64 v[112:113], v[94:95], -v[34:35]
	v_add_f64_e32 v[114:115], v[146:147], v[130:131]
	v_add_f64_e32 v[116:117], v[118:119], v[98:99]
	v_add_f64_e32 v[140:141], v[88:89], v[76:77]
	v_add_f64_e32 v[142:143], v[92:93], v[80:81]
	v_add_f64_e32 v[144:145], v[72:73], v[64:65]
	v_add_f64_e32 v[150:151], v[56:57], v[48:49]
	v_add_f64_e32 v[152:153], v[126:127], v[52:53]
	v_add_f64_e32 v[110:111], v[68:69], v[60:61]
	v_add_f64_e64 v[134:135], v[148:149], -v[46:47]
	v_add_f64_e32 v[138:139], v[122:123], v[102:103]
	v_add_f64_e64 v[136:137], v[120:121], -v[38:39]
	s_mov_b32 s0, 0xe8584caa
	s_mov_b32 s1, 0x3febb67a
	;; [unrolled: 1-line block ×3, first 2 shown]
	s_wait_alu 0xfffe
	s_mov_b32 s4, s0
	v_fma_f64 v[0:1], v[0:1], -0.5, v[102:103]
	v_fma_f64 v[2:3], v[2:3], -0.5, v[76:77]
	;; [unrolled: 1-line block ×3, first 2 shown]
	v_add_f64_e64 v[76:77], v[70:71], -v[22:23]
	v_fma_f64 v[10:11], v[10:11], -0.5, v[60:61]
	v_add_f64_e64 v[80:81], v[58:59], -v[18:19]
	v_fma_f64 v[14:15], v[14:15], -0.5, v[48:49]
	v_add_f64_e64 v[48:49], v[128:129], -v[108:109]
	v_fma_f64 v[52:53], v[84:85], -0.5, v[52:53]
	v_fma_f64 v[6:7], v[6:7], -0.5, v[130:131]
	v_fma_f64 v[8:9], v[8:9], -0.5, v[98:99]
	v_add_f64_e64 v[60:61], v[74:75], -v[26:27]
	v_fma_f64 v[12:13], v[12:13], -0.5, v[64:65]
	v_add_f64_e32 v[98:99], v[44:45], v[114:115]
	v_add_f64_e32 v[102:103], v[36:37], v[116:117]
	;; [unrolled: 1-line block ×9, first 2 shown]
	s_wait_alu 0xfffe
	v_fma_f64 v[140:141], v[86:87], s[4:5], v[0:1]
	v_fma_f64 v[142:143], v[96:97], s[4:5], v[2:3]
	;; [unrolled: 1-line block ×18, first 2 shown]
	v_mad_u32_u24 v52, v158, 24, 0
	v_cmp_gt_u32_e64 s0, 21, v158
	s_delay_alu instid0(VALU_DEP_2)
	v_add_nc_u32_e32 v48, 0x11b8, v52
	v_add_nc_u32_e32 v61, 0xa00, v52
	;; [unrolled: 1-line block ×9, first 2 shown]
	ds_store_2addr_b64 v61, v[140:141], v[142:143] offset0:60 offset1:249
	ds_store_2addr_b64 v134, v[144:145], v[84:85] offset0:54 offset1:241
	ds_store_2addr_b64 v52, v[98:99], v[150:151] offset1:1
	ds_store_2addr_b64 v52, v[102:103], v[152:153] offset0:189 offset1:190
	ds_store_2addr_b64 v52, v[6:7], v[8:9] offset0:2 offset1:191
	ds_store_2addr_b64 v60, v[110:111], v[0:1] offset1:1
	ds_store_2addr_b64 v48, v[114:115], v[2:3] offset1:1
	;; [unrolled: 1-line block ×4, first 2 shown]
	ds_store_b64 v52, v[130:131] offset:9072
	ds_store_2addr_b64 v136, v[96:97], v[12:13] offset1:1
	ds_store_b64 v52, v[138:139] offset:10584
	ds_store_2addr_b64 v137, v[112:113], v[14:15] offset1:1
	s_and_saveexec_b32 s1, s0
	s_cbranch_execz .LBB0_17
; %bb.16:
	ds_store_2addr_b64 v49, v[64:65], v[80:81] offset1:1
	ds_store_b64 v48, v[76:77] offset:7576
.LBB0_17:
	s_wait_alu 0xfffe
	s_or_b32 exec_lo, exec_lo, s1
	v_lshl_add_u32 v159, v158, 3, 0
	global_wb scope:SCOPE_SE
	s_wait_dscnt 0x0
	s_wait_kmcnt 0x0
	s_barrier_signal -1
	s_barrier_wait -1
	global_inv scope:SCOPE_SE
	v_add_nc_u32_e32 v8, 0x1000, v159
	v_add_nc_u32_e32 v9, 0x2000, v159
	;; [unrolled: 1-line block ×3, first 2 shown]
	ds_load_2addr_b64 v[4:7], v159 offset1:63
	ds_load_2addr_b64 v[0:3], v159 offset0:126 offset1:189
	ds_load_2addr_b64 v[150:153], v8 offset0:13 offset1:76
	;; [unrolled: 1-line block ×4, first 2 shown]
	v_add_nc_u32_e32 v8, 0x400, v159
	v_add_nc_u32_e32 v84, 0x2800, v159
	;; [unrolled: 1-line block ×3, first 2 shown]
	ds_load_2addr_b64 v[142:145], v9 offset0:152 offset1:215
	ds_load_2addr_b64 v[12:15], v8 offset0:124 offset1:187
	;; [unrolled: 1-line block ×7, first 2 shown]
	s_and_saveexec_b32 s1, s0
	s_cbranch_execz .LBB0_19
; %bb.18:
	ds_load_b64 v[64:65], v159 offset:4032
	ds_load_b64 v[80:81], v159 offset:8232
	;; [unrolled: 1-line block ×3, first 2 shown]
.LBB0_19:
	s_wait_alu 0xfffe
	s_or_b32 exec_lo, exec_lo, s1
	v_add_f64_e32 v[102:103], v[46:47], v[148:149]
	v_add_f64_e32 v[162:163], v[30:31], v[90:91]
	;; [unrolled: 1-line block ×10, first 2 shown]
	v_add_f64_e64 v[44:45], v[146:147], -v[44:45]
	v_add_f64_e32 v[90:91], v[90:91], v[78:79]
	v_add_f64_e32 v[94:95], v[94:95], v[82:83]
	;; [unrolled: 1-line block ×5, first 2 shown]
	v_add_f64_e64 v[28:29], v[88:89], -v[28:29]
	v_add_f64_e64 v[32:33], v[92:93], -v[32:33]
	v_add_f64_e64 v[20:21], v[68:69], -v[20:21]
	v_add_f64_e64 v[24:25], v[72:73], -v[24:25]
	v_add_f64_e64 v[16:17], v[56:57], -v[16:17]
	v_add_f64_e64 v[56:57], v[126:127], -v[106:107]
	v_add_f64_e32 v[120:121], v[120:121], v[100:101]
	v_add_f64_e64 v[36:37], v[118:119], -v[36:37]
	v_add_f64_e32 v[124:125], v[124:125], v[104:105]
	v_add_f64_e32 v[74:75], v[74:75], v[66:67]
	v_add_f64_e64 v[40:41], v[122:123], -v[40:41]
	s_mov_b32 s4, 0xe8584caa
	s_mov_b32 s5, 0xbfebb67a
	;; [unrolled: 1-line block ×3, first 2 shown]
	s_wait_alu 0xfffe
	s_mov_b32 s10, s4
	global_wb scope:SCOPE_SE
	s_wait_dscnt 0x0
	s_barrier_signal -1
	s_barrier_wait -1
	global_inv scope:SCOPE_SE
	v_fma_f64 v[102:103], v[102:103], -0.5, v[132:133]
	v_fma_f64 v[78:79], v[162:163], -0.5, v[78:79]
	;; [unrolled: 1-line block ×9, first 2 shown]
	v_add_f64_e32 v[46:47], v[46:47], v[148:149]
	v_add_f64_e32 v[30:31], v[30:31], v[90:91]
	;; [unrolled: 1-line block ×9, first 2 shown]
	v_fma_f64 v[58:59], v[44:45], s[4:5], v[102:103]
	v_fma_f64 v[88:89], v[28:29], s[4:5], v[78:79]
	s_wait_alu 0xfffe
	v_fma_f64 v[28:29], v[28:29], s[10:11], v[78:79]
	v_fma_f64 v[78:79], v[32:33], s[4:5], v[82:83]
	;; [unrolled: 1-line block ×16, first 2 shown]
	v_add_nc_u32_e32 v50, 0xa00, v52
	v_add_nc_u32_e32 v51, 0x1d88, v52
	;; [unrolled: 1-line block ×6, first 2 shown]
	ds_store_2addr_b64 v52, v[46:47], v[58:59] offset1:1
	ds_store_2addr_b64 v52, v[38:39], v[72:73] offset0:189 offset1:190
	ds_store_2addr_b64 v52, v[44:45], v[36:37] offset0:2 offset1:191
	ds_store_2addr_b64 v60, v[42:43], v[74:75] offset1:1
	ds_store_2addr_b64 v48, v[30:31], v[88:89] offset1:1
	ds_store_2addr_b64 v50, v[40:41], v[28:29] offset0:60 offset1:249
	ds_store_2addr_b64 v53, v[34:35], v[78:79] offset1:1
	ds_store_2addr_b64 v51, v[22:23], v[82:83] offset1:1
	;; [unrolled: 3-line block ×3, first 2 shown]
	ds_store_2addr_b64 v57, v[24:25], v[16:17] offset0:48 offset1:237
	s_and_saveexec_b32 s1, s0
	s_cbranch_execz .LBB0_21
; %bb.20:
	ds_store_2addr_b64 v49, v[66:67], v[70:71] offset1:1
	ds_store_b64 v48, v[68:69] offset:7576
.LBB0_21:
	s_wait_alu 0xfffe
	s_or_b32 exec_lo, exec_lo, s1
	v_add_nc_u32_e32 v24, 0x1000, v159
	v_add_nc_u32_e32 v25, 0x2000, v159
	global_wb scope:SCOPE_SE
	s_wait_dscnt 0x0
	s_barrier_signal -1
	s_barrier_wait -1
	global_inv scope:SCOPE_SE
	ds_load_2addr_b64 v[20:23], v159 offset1:63
	ds_load_2addr_b64 v[60:63], v24 offset0:13 offset1:76
	ds_load_2addr_b64 v[48:51], v25 offset0:26 offset1:89
	;; [unrolled: 1-line block ×4, first 2 shown]
	v_add_nc_u32_e32 v24, 0x400, v159
	v_add_nc_u32_e32 v32, 0x1800, v159
	;; [unrolled: 1-line block ×4, first 2 shown]
	ds_load_2addr_b64 v[56:59], v25 offset0:152 offset1:215
	ds_load_2addr_b64 v[28:31], v24 offset0:124 offset1:187
	;; [unrolled: 1-line block ×7, first 2 shown]
	s_and_saveexec_b32 s1, s0
	s_cbranch_execz .LBB0_23
; %bb.22:
	ds_load_b64 v[66:67], v159 offset:4032
	ds_load_b64 v[70:71], v159 offset:8232
	;; [unrolled: 1-line block ×3, first 2 shown]
.LBB0_23:
	s_wait_alu 0xfffe
	s_or_b32 exec_lo, exec_lo, s1
	v_add_nc_u32_e32 v160, 63, v158
	v_and_b32_e32 v119, 0xff, v158
	v_add_nc_u32_e32 v162, 0xbd, v158
	v_add_nc_u32_e32 v163, 0xfc, v158
	;; [unrolled: 1-line block ×3, first 2 shown]
	v_and_b32_e32 v166, 0xff, v160
	v_mul_lo_u16 v72, 0xab, v119
	v_add_nc_u32_e32 v73, 0x13b, v158
	v_and_b32_e32 v164, 0xff, v162
	v_and_b32_e32 v118, 0xffff, v163
	v_mul_lo_u16 v75, 0xab, v166
	v_lshrrev_b16 v225, 9, v72
	v_add_nc_u32_e32 v72, 0x1b9, v158
	v_and_b32_e32 v92, 0xffff, v78
	v_add_nc_u32_e32 v161, 0x7e, v158
	v_lshrrev_b16 v226, 9, v75
	v_mul_lo_u16 v75, v225, 3
	v_and_b32_e32 v88, 0xffff, v72
	v_and_b32_e32 v79, 0xffff, v73
	v_mul_lo_u16 v93, 0xab, v164
	v_mul_lo_u16 v82, v226, 3
	v_sub_nc_u16 v75, v158, v75
	v_mul_u32_u24_e32 v94, 0xaaab, v118
	v_mul_u32_u24_e32 v100, 0xaaab, v88
	;; [unrolled: 1-line block ×3, first 2 shown]
	v_sub_nc_u16 v82, v160, v82
	v_and_b32_e32 v227, 0xff, v75
	v_add_nc_u32_e32 v74, 0x17a, v158
	v_and_b32_e32 v165, 0xff, v161
	v_mul_u32_u24_e32 v79, 0xaaab, v79
	v_and_b32_e32 v228, 0xff, v82
	v_lshlrev_b32_e32 v82, 5, v227
	v_lshrrev_b16 v230, 9, v93
	v_lshrrev_b32_e32 v231, 17, v94
	v_lshrrev_b32_e32 v234, 17, v100
	v_lshlrev_b32_e32 v104, 5, v228
	global_load_b128 v[88:91], v82, s[8:9]
	v_lshrrev_b32_e32 v235, 17, v101
	global_load_b128 v[100:103], v82, s[8:9] offset:16
	v_and_b32_e32 v83, 0xffff, v74
	global_load_b128 v[92:95], v104, s[8:9]
	v_mul_lo_u16 v75, 0xab, v165
	v_lshrrev_b32_e32 v232, 17, v79
	v_mul_lo_u16 v107, v234, 3
	v_mul_u32_u24_e32 v83, 0xaaab, v83
	v_mul_lo_u16 v79, v230, 3
	v_lshrrev_b16 v229, 9, v75
	v_mul_lo_u16 v105, v232, 3
	v_sub_nc_u16 v72, v72, v107
	v_lshrrev_b32_e32 v233, 17, v83
	v_mul_lo_u16 v83, v231, 3
	v_mul_lo_u16 v75, v229, 3
	v_sub_nc_u16 v73, v73, v105
	v_sub_nc_u16 v79, v162, v79
	v_mul_lo_u16 v106, v233, 3
	v_sub_nc_u16 v82, v163, v83
	v_sub_nc_u16 v75, v161, v75
	v_and_b32_e32 v239, 0xffff, v73
	v_mul_lo_u16 v73, v235, 3
	v_sub_nc_u16 v74, v74, v106
	v_and_b32_e32 v241, 0xffff, v72
	v_and_b32_e32 v236, 0xff, v75
	;; [unrolled: 1-line block ×3, first 2 shown]
	v_sub_nc_u16 v72, v78, v73
	v_and_b32_e32 v238, 0xffff, v82
	v_and_b32_e32 v240, 0xffff, v74
	v_lshlrev_b32_e32 v75, 5, v236
	v_lshlrev_b32_e32 v79, 5, v237
	v_and_b32_e32 v242, 0xffff, v72
	s_clause 0x4
	global_load_b128 v[120:123], v104, s[8:9] offset:16
	global_load_b128 v[124:127], v75, s[8:9] offset:16
	global_load_b128 v[128:131], v75, s[8:9]
	global_load_b128 v[146:149], v79, s[8:9] offset:16
	global_load_b128 v[167:170], v79, s[8:9]
	v_lshlrev_b32_e32 v75, 5, v238
	v_lshlrev_b32_e32 v73, 5, v240
	;; [unrolled: 1-line block ×5, first 2 shown]
	s_clause 0x9
	global_load_b128 v[171:174], v75, s[8:9]
	global_load_b128 v[175:178], v79, s[8:9]
	global_load_b128 v[179:182], v75, s[8:9] offset:16
	global_load_b128 v[183:186], v79, s[8:9] offset:16
	global_load_b128 v[187:190], v73, s[8:9]
	global_load_b128 v[191:194], v74, s[8:9]
	global_load_b128 v[195:198], v73, s[8:9] offset:16
	global_load_b128 v[199:202], v74, s[8:9] offset:16
	global_load_b128 v[203:206], v72, s[8:9]
	global_load_b128 v[207:210], v72, s[8:9] offset:16
	s_mov_b32 s4, 0xe8584caa
	s_mov_b32 s5, 0x3febb67a
	;; [unrolled: 1-line block ×3, first 2 shown]
	s_wait_alu 0xfffe
	s_mov_b32 s10, s4
	global_wb scope:SCOPE_SE
	s_wait_loadcnt_dscnt 0x0
	s_barrier_signal -1
	s_barrier_wait -1
	global_inv scope:SCOPE_SE
	v_mul_f64_e32 v[72:73], v[60:61], v[90:91]
	v_mul_f64_e32 v[74:75], v[150:151], v[90:91]
	;; [unrolled: 1-line block ×13, first 2 shown]
	v_fma_f64 v[72:73], v[150:151], v[88:89], -v[72:73]
	v_fma_f64 v[74:75], v[60:61], v[88:89], v[74:75]
	v_mul_f64_e32 v[150:151], v[52:53], v[173:174]
	v_mul_f64_e32 v[211:212], v[54:55], v[177:178]
	v_fma_f64 v[60:61], v[152:153], v[92:93], -v[78:79]
	v_mul_f64_e32 v[152:153], v[40:41], v[181:182]
	v_mul_f64_e32 v[213:214], v[42:43], v[185:186]
	;; [unrolled: 1-line block ×6, first 2 shown]
	v_fma_f64 v[78:79], v[138:139], v[100:101], -v[90:91]
	v_mul_f64_e32 v[138:139], v[70:71], v[205:206]
	v_mul_f64_e32 v[223:224], v[68:69], v[209:210]
	v_fma_f64 v[62:63], v[62:63], v[92:93], v[82:83]
	v_fma_f64 v[48:49], v[48:49], v[100:101], v[94:95]
	v_fma_f64 v[82:83], v[140:141], v[120:121], -v[102:103]
	v_fma_f64 v[100:101], v[142:143], v[124:125], -v[108:109]
	;; [unrolled: 1-line block ×3, first 2 shown]
	v_mul_f64_e32 v[110:111], v[112:113], v[169:170]
	v_fma_f64 v[88:89], v[112:113], v[167:168], -v[106:107]
	v_mul_f64_e32 v[112:113], v[142:143], v[126:127]
	v_fma_f64 v[92:93], v[144:145], v[146:147], -v[132:133]
	v_mul_f64_e32 v[126:127], v[144:145], v[148:149]
	v_mul_f64_e32 v[132:133], v[134:135], v[173:174]
	;; [unrolled: 1-line block ×3, first 2 shown]
	v_fma_f64 v[102:103], v[134:135], v[171:172], -v[150:151]
	v_fma_f64 v[94:95], v[136:137], v[175:176], -v[211:212]
	v_mul_f64_e32 v[134:135], v[136:137], v[177:178]
	v_mul_f64_e32 v[136:137], v[114:115], v[181:182]
	v_fma_f64 v[106:107], v[114:115], v[179:180], -v[152:153]
	v_fma_f64 v[104:105], v[116:117], v[183:184], -v[213:214]
	v_mul_f64_e32 v[114:115], v[116:117], v[185:186]
	v_mul_f64_e32 v[116:117], v[96:97], v[189:190]
	v_fma_f64 v[108:109], v[96:97], v[187:188], -v[215:216]
	v_fma_f64 v[96:97], v[98:99], v[191:192], -v[217:218]
	v_mul_f64_e32 v[142:143], v[84:85], v[197:198]
	v_fma_f64 v[98:99], v[84:85], v[195:196], -v[219:220]
	v_fma_f64 v[84:85], v[86:87], v[199:200], -v[221:222]
	v_mul_f64_e32 v[148:149], v[80:81], v[205:206]
	v_fma_f64 v[80:81], v[80:81], v[203:204], -v[138:139]
	v_mul_f64_e32 v[138:139], v[76:77], v[209:210]
	;; [unrolled: 2-line block ×3, first 2 shown]
	v_fma_f64 v[50:51], v[50:51], v[120:121], v[122:123]
	v_fma_f64 v[86:87], v[44:45], v[128:129], v[130:131]
	v_add_f64_e32 v[128:129], v[4:5], v[72:73]
	v_add_f64_e64 v[130:131], v[74:75], -v[48:49]
	v_and_b32_e32 v173, 0xffff, v230
	v_mul_u32_u24_e32 v174, 0x48, v231
	v_mul_u32_u24_e32 v177, 0x48, v234
	v_fma_f64 v[110:111], v[46:47], v[167:168], v[110:111]
	v_fma_f64 v[44:45], v[56:57], v[124:125], v[112:113]
	v_add_f64_e32 v[56:57], v[72:73], v[78:79]
	v_fma_f64 v[46:47], v[58:59], v[146:147], v[126:127]
	v_add_f64_e32 v[58:59], v[60:61], v[82:83]
	v_add_f64_e32 v[112:113], v[90:91], v[100:101]
	v_fma_f64 v[52:53], v[52:53], v[171:172], v[132:133]
	v_fma_f64 v[38:39], v[38:39], v[191:192], v[140:141]
	;; [unrolled: 1-line block ×4, first 2 shown]
	v_add_f64_e32 v[132:133], v[6:7], v[60:61]
	v_add_f64_e32 v[120:121], v[94:95], v[104:105]
	v_fma_f64 v[42:43], v[42:43], v[183:184], v[114:115]
	v_add_f64_e32 v[114:115], v[88:89], v[92:93]
	v_fma_f64 v[36:37], v[36:37], v[187:188], v[116:117]
	;; [unrolled: 2-line block ×3, first 2 shown]
	v_add_f64_e32 v[122:123], v[108:109], v[98:99]
	v_add_f64_e32 v[124:125], v[96:97], v[84:85]
	v_fma_f64 v[70:71], v[70:71], v[203:204], v[148:149]
	v_add_f64_e32 v[134:135], v[0:1], v[90:91]
	v_fma_f64 v[68:69], v[68:69], v[207:208], v[138:139]
	;; [unrolled: 2-line block ×3, first 2 shown]
	v_add_f64_e32 v[136:137], v[2:3], v[88:89]
	v_add_f64_e32 v[144:145], v[10:11], v[96:97]
	;; [unrolled: 1-line block ×5, first 2 shown]
	v_and_b32_e32 v148, 0xffff, v225
	v_and_b32_e32 v149, 0xffff, v229
	v_add_f64_e32 v[128:129], v[128:129], v[78:79]
	v_lshlrev_b32_e32 v180, 3, v227
	v_mul_u32_u24_e32 v175, 0x48, v232
	v_mul_u32_u24_e32 v176, 0x48, v233
	;; [unrolled: 1-line block ×3, first 2 shown]
	v_fma_f64 v[4:5], v[56:57], -0.5, v[4:5]
	v_add_f64_e64 v[56:57], v[62:63], -v[50:51]
	v_fma_f64 v[6:7], v[58:59], -0.5, v[6:7]
	v_add_f64_e64 v[58:59], v[86:87], -v[44:45]
	;; [unrolled: 2-line block ×3, first 2 shown]
	v_mul_lo_u16 v112, v235, 9
	v_add_f64_e32 v[132:133], v[132:133], v[82:83]
	v_fma_f64 v[14:15], v[120:121], -0.5, v[14:15]
	v_fma_f64 v[2:3], v[114:115], -0.5, v[2:3]
	v_add_f64_e64 v[113:114], v[52:53], -v[40:41]
	v_fma_f64 v[12:13], v[116:117], -0.5, v[12:13]
	v_add_f64_e64 v[115:116], v[54:55], -v[42:43]
	v_add_f64_e64 v[120:121], v[36:37], -v[32:33]
	v_fma_f64 v[10:11], v[124:125], -0.5, v[10:11]
	v_fma_f64 v[8:9], v[122:123], -0.5, v[8:9]
	v_mul_u32_u24_e32 v117, 0x48, v148
	v_add_f64_e64 v[124:125], v[70:71], -v[68:69]
	v_fma_f64 v[126:127], v[126:127], -0.5, v[64:65]
	v_add_f64_e64 v[122:123], v[38:39], -v[34:35]
	v_and_b32_e32 v148, 0xffff, v226
	v_add_f64_e32 v[134:135], v[134:135], v[100:101]
	v_add_f64_e32 v[136:137], v[136:137], v[92:93]
	v_add_f64_e32 v[138:139], v[138:139], v[106:107]
	v_add_f64_e32 v[140:141], v[140:141], v[104:105]
	v_mul_u32_u24_e32 v178, 0x48, v148
	v_add_f64_e32 v[142:143], v[142:143], v[98:99]
	v_add_f64_e32 v[144:145], v[144:145], v[84:85]
	v_fma_f64 v[148:149], v[130:131], s[4:5], v[4:5]
	s_wait_alu 0xfffe
	v_fma_f64 v[4:5], v[130:131], s[10:11], v[4:5]
	v_fma_f64 v[130:131], v[56:57], s[4:5], v[6:7]
	;; [unrolled: 1-line block ×13, first 2 shown]
	v_mul_u32_u24_e32 v115, 0x48, v173
	v_fma_f64 v[0:1], v[124:125], s[4:5], v[126:127]
	v_fma_f64 v[2:3], v[124:125], s[10:11], v[126:127]
	v_fma_f64 v[171:172], v[122:123], s[4:5], v[10:11]
	v_fma_f64 v[10:11], v[122:123], s[10:11], v[10:11]
	v_add3_u32 v114, 0, v117, v180
	v_lshlrev_b32_e32 v116, 3, v228
	v_lshlrev_b32_e32 v117, 3, v236
	;; [unrolled: 1-line block ×8, first 2 shown]
	v_add3_u32 v123, 0, v178, v116
	v_add3_u32 v122, 0, v179, v117
	;; [unrolled: 1-line block ×7, first 2 shown]
	ds_store_2addr_b64 v114, v[128:129], v[148:149] offset1:3
	ds_store_b64 v114, v[4:5] offset:48
	ds_store_2addr_b64 v123, v[132:133], v[130:131] offset1:3
	ds_store_b64 v123, v[6:7] offset:48
	ds_store_2addr_b64 v122, v[134:135], v[56:57] offset1:3
	ds_store_b64 v122, v[58:59] offset:48
	ds_store_2addr_b64 v121, v[136:137], v[150:151] offset1:3
	ds_store_b64 v121, v[146:147] offset:48
	ds_store_2addr_b64 v120, v[138:139], v[152:153] offset1:3
	ds_store_b64 v120, v[12:13] offset:48
	ds_store_2addr_b64 v117, v[140:141], v[167:168] offset1:3
	ds_store_b64 v117, v[14:15] offset:48
	ds_store_2addr_b64 v116, v[142:143], v[169:170] offset1:3
	ds_store_b64 v116, v[8:9] offset:48
	ds_store_2addr_b64 v115, v[144:145], v[171:172] offset1:3
	ds_store_b64 v115, v[10:11] offset:48
	s_and_saveexec_b32 s1, s0
	s_cbranch_execz .LBB0_25
; %bb.24:
	v_add_f64_e32 v[4:5], v[64:65], v[80:81]
	v_and_b32_e32 v6, 0xffff, v112
	s_delay_alu instid0(VALU_DEP_1) | instskip(NEXT) | instid1(VALU_DEP_1)
	v_lshlrev_b32_e32 v6, 3, v6
	v_add3_u32 v6, 0, v113, v6
	s_delay_alu instid0(VALU_DEP_4)
	v_add_f64_e32 v[4:5], v[4:5], v[76:77]
	ds_store_2addr_b64 v6, v[4:5], v[0:1] offset1:3
	ds_store_b64 v6, v[2:3] offset:48
.LBB0_25:
	s_wait_alu 0xfffe
	s_or_b32 exec_lo, exec_lo, s1
	v_add_f64_e32 v[4:5], v[74:75], v[48:49]
	v_add_f64_e32 v[6:7], v[62:63], v[50:51]
	;; [unrolled: 1-line block ×10, first 2 shown]
	v_add_f64_e64 v[72:73], v[72:73], -v[78:79]
	v_add_f64_e32 v[78:79], v[22:23], v[62:63]
	v_add_f64_e32 v[36:37], v[24:25], v[36:37]
	;; [unrolled: 1-line block ×3, first 2 shown]
	v_add_f64_e64 v[60:61], v[60:61], -v[82:83]
	v_add_f64_e32 v[86:87], v[16:17], v[86:87]
	v_add_f64_e64 v[82:83], v[90:91], -v[100:101]
	v_add_f64_e32 v[110:111], v[18:19], v[110:111]
	;; [unrolled: 2-line block ×4, first 2 shown]
	v_add_nc_u32_e32 v62, 0x1000, v159
	v_add_nc_u32_e32 v63, 0x1800, v159
	global_wb scope:SCOPE_SE
	s_wait_dscnt 0x0
	s_barrier_signal -1
	s_barrier_wait -1
	global_inv scope:SCOPE_SE
	v_add_nc_u32_e32 v128, 0x800, v159
	v_add_nc_u32_e32 v129, 0x1400, v159
	;; [unrolled: 1-line block ×4, first 2 shown]
	v_fma_f64 v[4:5], v[4:5], -0.5, v[20:21]
	v_fma_f64 v[6:7], v[6:7], -0.5, v[22:23]
	v_fma_f64 v[23:24], v[56:57], -0.5, v[24:25]
	v_fma_f64 v[25:26], v[58:59], -0.5, v[26:27]
	v_add_f64_e64 v[58:59], v[80:81], -v[76:77]
	v_fma_f64 v[64:65], v[64:65], -0.5, v[66:67]
	v_fma_f64 v[16:17], v[8:9], -0.5, v[16:17]
	;; [unrolled: 1-line block ×4, first 2 shown]
	v_add_f64_e64 v[28:29], v[94:95], -v[104:105]
	v_fma_f64 v[14:15], v[14:15], -0.5, v[30:31]
	v_add_f64_e64 v[30:31], v[108:109], -v[98:99]
	v_add_f64_e64 v[56:57], v[96:97], -v[84:85]
	v_add_f64_e32 v[74:75], v[74:75], v[48:49]
	v_add_f64_e32 v[76:77], v[78:79], v[50:51]
	;; [unrolled: 1-line block ×3, first 2 shown]
	v_add_nc_u32_e32 v20, 0x400, v159
	v_add_f64_e32 v[80:81], v[110:111], v[46:47]
	v_add_nc_u32_e32 v22, 0x2400, v159
	v_add_f64_e32 v[84:85], v[52:53], v[40:41]
	ds_load_2addr_b64 v[8:11], v159 offset1:63
	v_add_f64_e32 v[86:87], v[54:55], v[42:43]
	v_add_f64_e32 v[92:93], v[36:37], v[32:33]
	;; [unrolled: 1-line block ×3, first 2 shown]
	v_add_nc_u32_e32 v21, 0x1c00, v159
	v_fma_f64 v[96:97], v[72:73], s[10:11], v[4:5]
	v_fma_f64 v[72:73], v[72:73], s[4:5], v[4:5]
	;; [unrolled: 1-line block ×18, first 2 shown]
	ds_load_2addr_b64 v[12:15], v159 offset0:126 offset1:189
	v_add_nc_u32_e32 v64, 0xc00, v159
	ds_load_b64 v[60:61], v159 offset:12096
	ds_load_2addr_b64 v[16:19], v20 offset0:124 offset1:187
	ds_load_2addr_b64 v[52:55], v62 offset0:118 offset1:181
	;; [unrolled: 1-line block ×10, first 2 shown]
	global_wb scope:SCOPE_SE
	s_wait_dscnt 0x0
	s_barrier_signal -1
	s_barrier_wait -1
	global_inv scope:SCOPE_SE
	ds_store_2addr_b64 v114, v[74:75], v[96:97] offset1:3
	ds_store_b64 v114, v[72:73] offset:48
	ds_store_2addr_b64 v123, v[76:77], v[98:99] offset1:3
	ds_store_b64 v123, v[100:101] offset:48
	;; [unrolled: 2-line block ×8, first 2 shown]
	s_and_saveexec_b32 s1, s0
	s_cbranch_execz .LBB0_27
; %bb.26:
	v_add_f64_e32 v[65:66], v[66:67], v[70:71]
	v_and_b32_e32 v23, 0xffff, v112
	s_delay_alu instid0(VALU_DEP_1) | instskip(NEXT) | instid1(VALU_DEP_1)
	v_lshlrev_b32_e32 v23, 3, v23
	v_add3_u32 v23, 0, v113, v23
	s_delay_alu instid0(VALU_DEP_4)
	v_add_f64_e32 v[65:66], v[65:66], v[68:69]
	ds_store_2addr_b64 v23, v[65:66], v[4:5] offset1:3
	ds_store_b64 v23, v[6:7] offset:48
.LBB0_27:
	s_wait_alu 0xfffe
	s_or_b32 exec_lo, exec_lo, s1
	v_mul_lo_u16 v23, v119, 57
	v_mul_lo_u16 v67, v165, 57
	;; [unrolled: 1-line block ×4, first 2 shown]
	v_mul_u32_u24_e32 v71, 0xe38f, v118
	v_lshrrev_b16 v65, 9, v23
	v_lshrrev_b16 v70, 9, v67
	;; [unrolled: 1-line block ×4, first 2 shown]
	v_lshrrev_b32_e32 v71, 19, v71
	v_mul_lo_u16 v23, v65, 9
	global_wb scope:SCOPE_SE
	s_wait_dscnt 0x0
	v_mul_lo_u16 v68, v66, 9
	v_mul_lo_u16 v76, v150, 9
	s_barrier_signal -1
	v_sub_nc_u16 v23, v158, v23
	s_barrier_wait -1
	v_sub_nc_u16 v68, v160, v68
	global_inv scope:SCOPE_SE
	v_mul_lo_u16 v82, v71, 9
	v_and_b32_e32 v67, 0xff, v23
	v_mul_lo_u16 v23, v70, 9
	v_and_b32_e32 v68, 0xff, v68
	s_mov_b32 s4, 0x134454ff
	s_mov_b32 s5, 0x3fee6f0e
	v_lshlrev_b32_e32 v80, 6, v67
	v_sub_nc_u16 v23, v161, v23
	v_lshlrev_b32_e32 v81, 6, v68
	s_mov_b32 s11, 0xbfee6f0e
	s_wait_alu 0xfffe
	s_mov_b32 s10, s4
	global_load_b128 v[72:75], v80, s[8:9] offset:144
	v_and_b32_e32 v69, 0xff, v23
	v_sub_nc_u16 v23, v162, v76
	s_clause 0x2
	global_load_b128 v[76:79], v81, s[8:9] offset:144
	global_load_b128 v[92:95], v80, s[8:9] offset:112
	;; [unrolled: 1-line block ×3, first 2 shown]
	s_mov_b32 s12, 0x4755a5e
	v_lshlrev_b32_e32 v83, 6, v69
	v_and_b32_e32 v151, 0xff, v23
	v_sub_nc_u16 v23, v163, v82
	s_clause 0x3
	global_load_b128 v[102:105], v81, s[8:9] offset:96
	global_load_b128 v[118:121], v83, s[8:9] offset:96
	;; [unrolled: 1-line block ×4, first 2 shown]
	v_lshlrev_b32_e32 v82, 6, v151
	v_and_b32_e32 v152, 0xffff, v23
	s_clause 0x1
	global_load_b128 v[142:145], v83, s[8:9] offset:112
	global_load_b128 v[146:149], v82, s[8:9] offset:112
	s_mov_b32 s13, 0x3fe2cf23
	v_lshlrev_b32_e32 v23, 6, v152
	s_clause 0x9
	global_load_b128 v[167:170], v83, s[8:9] offset:144
	global_load_b128 v[171:174], v82, s[8:9] offset:144
	;; [unrolled: 1-line block ×10, first 2 shown]
	ds_load_2addr_b64 v[203:206], v22 offset0:108 offset1:171
	ds_load_2addr_b64 v[207:210], v62 offset0:118 offset1:181
	;; [unrolled: 1-line block ×10, first 2 shown]
	ds_load_b64 v[249:250], v159 offset:12096
	s_mov_b32 s15, 0xbfe2cf23
	s_mov_b32 s14, s12
	;; [unrolled: 1-line block ×4, first 2 shown]
	v_lshlrev_b32_e32 v67, 3, v67
	v_lshlrev_b32_e32 v68, 3, v68
	v_lshlrev_b32_e32 v69, 3, v69
	v_cmp_gt_u32_e64 s0, 36, v158
	s_wait_loadcnt_dscnt 0x130a
	v_mul_f64_e32 v[80:81], v[203:204], v[74:75]
	v_mul_f64_e32 v[74:75], v[56:57], v[74:75]
	s_wait_loadcnt 0x12
	v_mul_f64_e32 v[82:83], v[205:206], v[78:79]
	s_wait_loadcnt_dscnt 0x1109
	v_mul_f64_e32 v[84:85], v[207:208], v[94:95]
	s_wait_loadcnt 0x10
	v_mul_f64_e32 v[86:87], v[209:210], v[100:101]
	s_wait_loadcnt_dscnt 0xf08
	;; [unrolled: 4-line block ×3, first 2 shown]
	v_mul_f64_e32 v[110:111], v[217:218], v[140:141]
	v_mul_f64_e32 v[108:109], v[215:216], v[136:137]
	s_wait_loadcnt_dscnt 0x905
	v_mul_f64_e32 v[116:117], v[223:224], v[169:170]
	s_wait_loadcnt 0x8
	v_mul_f64_e32 v[126:127], v[225:226], v[173:174]
	v_mul_f64_e32 v[112:113], v[219:220], v[144:145]
	v_mul_f64_e32 v[114:115], v[221:222], v[148:149]
	s_wait_loadcnt_dscnt 0x704
	v_mul_f64_e32 v[130:131], v[227:228], v[177:178]
	s_wait_loadcnt 0x6
	v_mul_f64_e32 v[239:240], v[229:230], v[181:182]
	s_wait_loadcnt_dscnt 0x503
	v_mul_f64_e32 v[241:242], v[233:234], v[124:125]
	s_wait_loadcnt_dscnt 0x302
	v_mul_f64_e32 v[245:246], v[235:236], v[189:190]
	s_wait_loadcnt 0x2
	v_mul_f64_e32 v[247:248], v[237:238], v[193:194]
	v_mul_f64_e32 v[243:244], v[231:232], v[185:186]
	v_fma_f64 v[88:89], v[56:57], v[72:73], -v[80:81]
	v_fma_f64 v[72:73], v[203:204], v[72:73], v[74:75]
	s_wait_loadcnt_dscnt 0x101
	v_mul_f64_e32 v[203:204], v[22:23], v[197:198]
	v_mul_f64_e32 v[56:57], v[58:59], v[78:79]
	;; [unrolled: 1-line block ×3, first 2 shown]
	v_fma_f64 v[82:83], v[58:59], v[76:77], -v[82:83]
	v_mul_f64_e32 v[58:59], v[54:55], v[100:101]
	v_fma_f64 v[100:101], v[52:53], v[92:93], -v[84:85]
	v_fma_f64 v[78:79], v[54:55], v[98:99], -v[86:87]
	v_mul_f64_e32 v[52:53], v[48:49], v[104:105]
	v_fma_f64 v[96:97], v[48:49], v[102:103], -v[90:91]
	v_mul_f64_e32 v[48:49], v[44:45], v[136:137]
	v_mul_f64_e32 v[136:137], v[46:47], v[140:141]
	v_fma_f64 v[84:85], v[46:47], v[138:139], -v[110:111]
	v_mul_f64_e32 v[46:47], v[42:43], v[148:149]
	v_fma_f64 v[80:81], v[50:51], v[118:119], -v[106:107]
	v_fma_f64 v[86:87], v[42:43], v[146:147], -v[114:115]
	s_wait_loadcnt_dscnt 0x0
	v_mul_f64_e32 v[42:43], v[249:250], v[201:202]
	v_fma_f64 v[94:95], v[44:45], v[134:135], -v[108:109]
	v_mul_f64_e32 v[44:45], v[40:41], v[144:145]
	v_fma_f64 v[90:91], v[40:41], v[142:143], -v[112:113]
	;; [unrolled: 2-line block ×3, first 2 shown]
	v_fma_f64 v[104:105], v[38:39], v[171:172], -v[126:127]
	v_mul_f64_e32 v[36:37], v[38:39], v[173:174]
	v_mul_f64_e32 v[38:39], v[32:33], v[177:178]
	v_fma_f64 v[112:113], v[32:33], v[175:176], -v[130:131]
	v_fma_f64 v[106:107], v[34:35], v[179:180], -v[239:240]
	v_mul_f64_e32 v[32:33], v[34:35], v[181:182]
	v_mul_f64_e32 v[34:35], v[26:27], v[124:125]
	v_fma_f64 v[124:125], v[26:27], v[122:123], -v[241:242]
	v_mul_f64_e32 v[26:27], v[28:29], v[189:190]
	v_fma_f64 v[116:117], v[28:29], v[187:188], -v[245:246]
	v_fma_f64 v[114:115], v[30:31], v[191:192], -v[247:248]
	v_mul_f64_e32 v[28:29], v[30:31], v[193:194]
	v_mul_f64_e32 v[30:31], v[18:19], v[197:198]
	;; [unrolled: 1-line block ×3, first 2 shown]
	v_fma_f64 v[108:109], v[24:25], v[183:184], -v[243:244]
	v_mul_f64_e32 v[24:25], v[24:25], v[185:186]
	v_fma_f64 v[126:127], v[18:19], v[195:196], -v[203:204]
	v_mul_f64_e32 v[18:19], v[60:61], v[201:202]
	v_fma_f64 v[92:93], v[207:208], v[92:93], v[74:75]
	v_fma_f64 v[98:99], v[209:210], v[98:99], v[58:59]
	;; [unrolled: 1-line block ×3, first 2 shown]
	v_add_f64_e32 v[169:170], v[12:13], v[80:81]
	v_fma_f64 v[120:121], v[60:61], v[199:200], -v[42:43]
	v_add_f64_e32 v[60:61], v[10:11], v[96:97]
	v_add_f64_e64 v[185:186], v[94:95], -v[82:83]
	v_fma_f64 v[48:49], v[223:224], v[167:168], v[40:41]
	v_add_f64_e64 v[193:194], v[84:85], -v[110:111]
	v_add_f64_e64 v[189:190], v[110:111], -v[84:85]
	v_fma_f64 v[134:135], v[225:226], v[171:172], v[36:37]
	v_fma_f64 v[140:141], v[227:228], v[175:176], v[38:39]
	v_add_f64_e32 v[38:39], v[78:79], v[94:95]
	v_add_f64_e32 v[36:37], v[90:91], v[84:85]
	v_fma_f64 v[148:149], v[229:230], v[179:180], v[32:33]
	v_fma_f64 v[50:51], v[233:234], v[122:123], v[34:35]
	;; [unrolled: 1-line block ×4, first 2 shown]
	v_add_f64_e32 v[32:33], v[80:81], v[110:111]
	v_fma_f64 v[142:143], v[221:222], v[146:147], v[46:47]
	v_fma_f64 v[144:145], v[237:238], v[191:192], v[28:29]
	;; [unrolled: 1-line block ×3, first 2 shown]
	v_add_f64_e32 v[30:31], v[100:101], v[124:125]
	v_fma_f64 v[22:23], v[205:206], v[76:77], v[56:57]
	v_fma_f64 v[76:77], v[217:218], v[138:139], v[136:137]
	;; [unrolled: 1-line block ×3, first 2 shown]
	v_add_f64_e32 v[34:35], v[126:127], v[88:89]
	v_add_f64_e32 v[26:27], v[96:97], v[82:83]
	v_fma_f64 v[118:119], v[213:214], v[118:119], v[54:55]
	v_fma_f64 v[146:147], v[231:232], v[183:184], v[24:25]
	v_add_f64_e32 v[24:25], v[86:87], v[116:117]
	v_fma_f64 v[138:139], v[249:250], v[199:200], v[18:19]
	v_add_f64_e32 v[18:19], v[112:113], v[104:105]
	v_add_f64_e32 v[28:29], v[108:109], v[114:115]
	v_add_f64_e32 v[42:43], v[8:9], v[126:127]
	v_add_f64_e32 v[171:172], v[14:15], v[112:113]
	v_add_f64_e32 v[173:174], v[16:17], v[106:107]
	v_add_f64_e64 v[52:53], v[126:127], -v[100:101]
	v_add_f64_e64 v[54:55], v[88:89], -v[124:125]
	;; [unrolled: 1-line block ×4, first 2 shown]
	v_add_f64_e32 v[40:41], v[106:107], v[120:121]
	v_add_f64_e64 v[183:184], v[78:79], -v[96:97]
	v_add_f64_e64 v[191:192], v[90:91], -v[80:81]
	;; [unrolled: 1-line block ×5, first 2 shown]
	v_add_f64_e32 v[60:61], v[60:61], v[78:79]
	v_add_f64_e64 v[187:188], v[80:81], -v[90:91]
	v_add_f64_e64 v[179:180], v[140:141], -v[134:135]
	v_fma_f64 v[38:39], v[38:39], -0.5, v[10:11]
	v_fma_f64 v[36:37], v[36:37], -0.5, v[12:13]
	v_add_f64_e32 v[169:170], v[169:170], v[90:91]
	v_add_f64_e64 v[46:47], v[92:93], -v[50:51]
	v_add_f64_e64 v[199:200], v[86:87], -v[112:113]
	v_add_f64_e64 v[201:202], v[116:117], -v[104:105]
	v_fma_f64 v[12:13], v[32:33], -0.5, v[12:13]
	v_add_f64_e64 v[203:204], v[106:107], -v[108:109]
	v_add_f64_e64 v[205:206], v[120:121], -v[114:115]
	v_add_f64_e64 v[44:45], v[130:131], -v[72:73]
	v_fma_f64 v[30:31], v[30:31], -0.5, v[8:9]
	;; [unrolled: 4-line block ×3, first 2 shown]
	v_add_f64_e64 v[34:35], v[98:99], -v[74:75]
	v_fma_f64 v[10:11], v[26:27], -0.5, v[10:11]
	v_add_f64_e64 v[177:178], v[118:119], -v[48:49]
	v_add_f64_e64 v[26:27], v[102:103], -v[76:77]
	v_fma_f64 v[24:25], v[24:25], -0.5, v[14:15]
	v_fma_f64 v[14:15], v[18:19], -0.5, v[14:15]
	v_add_f64_e64 v[181:182], v[148:149], -v[138:139]
	v_fma_f64 v[28:29], v[28:29], -0.5, v[16:17]
	v_add_f64_e64 v[18:19], v[146:147], -v[144:145]
	v_add_f64_e32 v[42:43], v[42:43], v[100:101]
	v_add_f64_e32 v[171:172], v[171:172], v[86:87]
	;; [unrolled: 1-line block ×3, first 2 shown]
	v_add_f64_e64 v[209:210], v[114:115], -v[120:121]
	v_add_f64_e32 v[52:53], v[52:53], v[54:55]
	v_fma_f64 v[16:17], v[40:41], -0.5, v[16:17]
	v_add_f64_e64 v[40:41], v[82:83], -v[94:95]
	v_add_f64_e32 v[54:55], v[56:57], v[58:59]
	v_add_f64_e32 v[58:59], v[183:184], v[185:186]
	v_add_f64_e32 v[183:184], v[191:192], v[193:194]
	v_add_f64_e32 v[185:186], v[195:196], v[197:198]
	v_add_f64_e32 v[60:61], v[60:61], v[94:95]
	v_add_f64_e32 v[169:170], v[169:170], v[84:85]
	v_fma_f64 v[211:212], v[44:45], s[4:5], v[30:31]
	s_wait_alu 0xfffe
	v_fma_f64 v[30:31], v[44:45], s[10:11], v[30:31]
	v_fma_f64 v[215:216], v[167:168], s[4:5], v[38:39]
	;; [unrolled: 1-line block ×17, first 2 shown]
	v_add_f64_e32 v[193:194], v[42:43], v[124:125]
	v_fma_f64 v[229:230], v[18:19], s[10:11], v[16:17]
	v_fma_f64 v[16:17], v[18:19], s[4:5], v[16:17]
	v_add_f64_e32 v[56:57], v[175:176], v[40:41]
	v_add_f64_e32 v[175:176], v[187:188], v[189:190]
	;; [unrolled: 1-line block ×9, first 2 shown]
	v_fma_f64 v[195:196], v[46:47], s[12:13], v[211:212]
	v_fma_f64 v[30:31], v[46:47], s[14:15], v[30:31]
	;; [unrolled: 1-line block ×20, first 2 shown]
	v_add_f64_e32 v[193:194], v[193:194], v[88:89]
	v_add_f64_e32 v[171:172], v[171:172], v[104:105]
	ds_load_2addr_b64 v[40:43], v159 offset1:63
	ds_load_2addr_b64 v[16:19], v159 offset0:126 offset1:189
	global_wb scope:SCOPE_SE
	s_wait_dscnt 0x0
	v_add_f64_e32 v[173:174], v[173:174], v[120:121]
	s_barrier_signal -1
	s_barrier_wait -1
	global_inv scope:SCOPE_SE
	v_fma_f64 v[195:196], v[52:53], s[16:17], v[195:196]
	v_fma_f64 v[30:31], v[52:53], s[16:17], v[30:31]
	;; [unrolled: 1-line block ×20, first 2 shown]
	v_and_b32_e32 v28, 0xffff, v65
	v_and_b32_e32 v29, 0xffff, v66
	;; [unrolled: 1-line block ×4, first 2 shown]
	v_mul_u32_u24_e32 v70, 0x168, v71
	v_mul_u32_u24_e32 v28, 0x168, v28
	;; [unrolled: 1-line block ×5, first 2 shown]
	v_lshlrev_b32_e32 v71, 3, v151
	v_lshlrev_b32_e32 v150, 3, v152
	v_add3_u32 v167, 0, v28, v67
	v_add3_u32 v153, 0, v29, v68
	;; [unrolled: 1-line block ×5, first 2 shown]
	ds_store_2addr_b64 v167, v[193:194], v[195:196] offset1:9
	ds_store_2addr_b64 v167, v[46:47], v[52:53] offset0:18 offset1:27
	ds_store_b64 v167, v[30:31] offset:288
	ds_store_2addr_b64 v153, v[60:61], v[44:45] offset1:9
	ds_store_2addr_b64 v153, v[38:39], v[54:55] offset0:18 offset1:27
	ds_store_b64 v153, v[34:35] offset:288
	;; [unrolled: 3-line block ×5, first 2 shown]
	global_wb scope:SCOPE_SE
	s_wait_dscnt 0x0
	s_barrier_signal -1
	s_barrier_wait -1
	global_inv scope:SCOPE_SE
	ds_load_2addr_b64 v[28:31], v159 offset1:63
	ds_load_2addr_b64 v[24:27], v159 offset0:126 offset1:225
	ds_load_2addr_b64 v[64:67], v64 offset0:66 offset1:129
	;; [unrolled: 1-line block ×9, first 2 shown]
	ds_load_b64 v[132:133], v159 offset:11808
                                        ; implicit-def: $vgpr128_vgpr129
	s_and_saveexec_b32 s1, s0
	s_cbranch_execz .LBB0_29
; %bb.28:
	v_add_nc_u32_e32 v0, 0x500, v159
	v_add_nc_u32_e32 v1, 0x1380, v159
	;; [unrolled: 1-line block ×3, first 2 shown]
	ds_load_2addr_b64 v[8:11], v0 offset0:29 offset1:254
	ds_load_2addr_b64 v[12:15], v1 offset0:15 offset1:240
	;; [unrolled: 1-line block ×3, first 2 shown]
	ds_load_b64 v[128:129], v159 offset:12312
.LBB0_29:
	s_wait_alu 0xfffe
	s_or_b32 exec_lo, exec_lo, s1
	v_add_f64_e32 v[168:169], v[92:93], v[50:51]
	v_add_f64_e32 v[170:171], v[130:131], v[72:73]
	;; [unrolled: 1-line block ×11, first 2 shown]
	v_add_f64_e64 v[88:89], v[126:127], -v[88:89]
	v_add_f64_e32 v[192:193], v[42:43], v[122:123]
	v_add_f64_e64 v[82:83], v[96:97], -v[82:83]
	v_add_f64_e32 v[96:97], v[16:17], v[118:119]
	v_add_f64_e32 v[194:195], v[18:19], v[140:141]
	;; [unrolled: 1-line block ×3, first 2 shown]
	v_add_f64_e64 v[100:101], v[100:101], -v[124:125]
	v_add_f64_e64 v[78:79], v[78:79], -v[94:95]
	;; [unrolled: 1-line block ×18, first 2 shown]
	global_wb scope:SCOPE_SE
	s_wait_dscnt 0x0
	s_barrier_signal -1
	s_barrier_wait -1
	v_fma_f64 v[168:169], v[168:169], -0.5, v[40:41]
	v_fma_f64 v[40:41], v[170:171], -0.5, v[40:41]
	;; [unrolled: 1-line block ×10, first 2 shown]
	v_add_f64_e64 v[176:177], v[140:141], -v[142:143]
	v_add_f64_e64 v[140:141], v[142:143], -v[140:141]
	;; [unrolled: 1-line block ×4, first 2 shown]
	v_add_f64_e32 v[92:93], v[188:189], v[92:93]
	v_add_f64_e32 v[98:99], v[192:193], v[98:99]
	;; [unrolled: 1-line block ×5, first 2 shown]
	v_add_f64_e64 v[172:173], v[48:49], -v[76:77]
	v_add_f64_e64 v[174:175], v[76:77], -v[48:49]
	;; [unrolled: 1-line block ×6, first 2 shown]
	global_inv scope:SCOPE_SE
	v_add_f64_e32 v[124:125], v[124:125], v[126:127]
	v_add_f64_e32 v[126:127], v[130:131], v[190:191]
	;; [unrolled: 1-line block ×4, first 2 shown]
	v_fma_f64 v[146:147], v[88:89], s[10:11], v[168:169]
	v_fma_f64 v[168:169], v[88:89], s[4:5], v[168:169]
	;; [unrolled: 1-line block ×20, first 2 shown]
	v_add_f64_e32 v[50:51], v[92:93], v[50:51]
	v_add_f64_e32 v[74:75], v[98:99], v[74:75]
	;; [unrolled: 1-line block ×11, first 2 shown]
	v_fma_f64 v[98:99], v[100:101], s[14:15], v[146:147]
	v_fma_f64 v[100:101], v[100:101], s[12:13], v[168:169]
	;; [unrolled: 1-line block ×20, first 2 shown]
	v_add_f64_e32 v[72:73], v[50:51], v[72:73]
	v_add_f64_e32 v[22:23], v[74:75], v[22:23]
	;; [unrolled: 1-line block ×5, first 2 shown]
	v_add_nc_u32_e32 v112, 0x2800, v159
	v_add_nc_u32_e32 v113, 0x800, v159
	v_fma_f64 v[96:97], v[124:125], s[16:17], v[98:99]
	v_fma_f64 v[98:99], v[124:125], s[16:17], v[100:101]
	;; [unrolled: 1-line block ×20, first 2 shown]
	v_add_nc_u32_e32 v104, 0xc00, v159
	v_add_nc_u32_e32 v105, 0x1000, v159
	v_add_nc_u32_e32 v106, 0x1800, v159
	v_add_nc_u32_e32 v107, 0x2000, v159
	v_add_nc_u32_e32 v114, 0x1400, v159
                                        ; implicit-def: $vgpr130_vgpr131
	ds_store_2addr_b64 v167, v[72:73], v[96:97] offset1:9
	ds_store_2addr_b64 v167, v[100:101], v[102:103] offset0:18 offset1:27
	ds_store_b64 v167, v[98:99] offset:288
	ds_store_2addr_b64 v153, v[22:23], v[88:89] offset1:9
	ds_store_2addr_b64 v153, v[94:95], v[108:109] offset0:18 offset1:27
	ds_store_b64 v153, v[78:79] offset:288
	;; [unrolled: 3-line block ×5, first 2 shown]
	global_wb scope:SCOPE_SE
	s_wait_dscnt 0x0
	s_barrier_signal -1
	s_barrier_wait -1
	global_inv scope:SCOPE_SE
	ds_load_2addr_b64 v[20:23], v159 offset1:63
	ds_load_2addr_b64 v[16:19], v159 offset0:126 offset1:225
	ds_load_2addr_b64 v[92:95], v104 offset0:66 offset1:129
	;; [unrolled: 1-line block ×9, first 2 shown]
	ds_load_b64 v[134:135], v159 offset:11808
	s_and_saveexec_b32 s1, s0
	s_cbranch_execz .LBB0_31
; %bb.30:
	v_add_nc_u32_e32 v4, 0x500, v159
	v_add_nc_u32_e32 v5, 0x1380, v159
	;; [unrolled: 1-line block ×3, first 2 shown]
	ds_load_2addr_b64 v[48:51], v4 offset0:29 offset1:254
	ds_load_2addr_b64 v[40:43], v5 offset0:15 offset1:240
	;; [unrolled: 1-line block ×3, first 2 shown]
	ds_load_b64 v[130:131], v159 offset:12312
.LBB0_31:
	s_wait_alu 0xfffe
	s_or_b32 exec_lo, exec_lo, s1
	v_mul_lo_u16 v104, 0x6d, v166
	v_mul_lo_u16 v105, 0x6d, v165
	v_subrev_nc_u32_e32 v108, 45, v158
	v_cmp_gt_u32_e64 s1, 45, v158
	s_mov_b32 s12, 0xe976ee23
	v_lshrrev_b16 v104, 8, v104
	v_lshrrev_b16 v106, 8, v105
	s_mov_b32 s4, 0x429ad128
	s_wait_alu 0xf1ff
	v_cndmask_b32_e64 v140, v108, v158, s1
	s_mov_b32 s14, 0x37e14327
	v_sub_nc_u16 v105, v160, v104
	v_sub_nc_u16 v107, v161, v106
	s_mov_b32 s10, 0x36b3c0b5
	s_mov_b32 s13, 0xbfe11646
	;; [unrolled: 1-line block ×3, first 2 shown]
	v_lshrrev_b16 v105, 1, v105
	v_lshrrev_b16 v107, 1, v107
	s_mov_b32 s15, 0x3fe948f6
	s_mov_b32 s11, 0x3fac98ee
	;; [unrolled: 1-line block ×3, first 2 shown]
	v_and_b32_e32 v109, 0x7f, v105
	v_and_b32_e32 v107, 0x7f, v107
	s_mov_b32 s18, 0xaaaaaaaa
	s_mov_b32 s16, 0x5476071b
	;; [unrolled: 1-line block ×3, first 2 shown]
	v_add_nc_u16 v108, v109, v104
	v_add_nc_u16 v106, v107, v106
	v_mul_i32_i24_e32 v104, 6, v140
	s_mov_b32 s21, 0xbfd5d0dc
	s_mov_b32 s19, 0xbff2aaaa
	v_lshrrev_b16 v141, 5, v108
	v_lshrrev_b16 v142, 5, v106
	s_mov_b32 s17, 0x3fe77f67
	s_mov_b32 s23, 0xbfe77f67
	s_wait_alu 0xfffe
	s_mov_b32 s20, s24
	v_mul_lo_u16 v106, v141, 45
	v_mul_lo_u16 v107, v142, 45
	s_mov_b32 s22, s16
	s_mov_b32 s26, 0x37c3f68c
	;; [unrolled: 1-line block ×3, first 2 shown]
	v_sub_nc_u16 v106, v160, v106
	s_delay_alu instid0(VALU_DEP_1) | instskip(SKIP_2) | instid1(VALU_DEP_3)
	v_and_b32_e32 v143, 0xff, v106
	v_sub_nc_u16 v106, v161, v107
	v_mov_b32_e32 v105, 0
	v_mul_u32_u24_e32 v107, 6, v143
	s_delay_alu instid0(VALU_DEP_3) | instskip(NEXT) | instid1(VALU_DEP_3)
	v_and_b32_e32 v144, 0xff, v106
	v_lshlrev_b64_e32 v[104:105], 4, v[104:105]
	s_delay_alu instid0(VALU_DEP_3) | instskip(NEXT) | instid1(VALU_DEP_3)
	v_lshlrev_b32_e32 v106, 4, v107
	v_mul_u32_u24_e32 v107, 6, v144
	s_delay_alu instid0(VALU_DEP_3) | instskip(SKIP_1) | instid1(VALU_DEP_4)
	v_add_co_u32 v104, s1, s8, v104
	s_wait_alu 0xf1ff
	v_add_co_ci_u32_e64 v105, s1, s9, v105, s1
	s_delay_alu instid0(VALU_DEP_3)
	v_lshlrev_b32_e32 v107, 4, v107
	global_load_b128 v[169:172], v106, s[8:9] offset:688
	v_cmp_lt_u32_e64 s1, 44, v158
	s_clause 0x10
	global_load_b128 v[136:139], v[104:105], off offset:688
	global_load_b128 v[146:149], v[104:105], off offset:720
	;; [unrolled: 1-line block ×4, first 2 shown]
	global_load_b128 v[173:176], v106, s[8:9] offset:752
	global_load_b128 v[177:180], v[104:105], off offset:736
	global_load_b128 v[181:184], v106, s[8:9] offset:672
	global_load_b128 v[185:188], v107, s[8:9] offset:672
	;; [unrolled: 1-line block ×6, first 2 shown]
	global_load_b128 v[205:208], v[104:105], off offset:704
	global_load_b128 v[209:212], v106, s[8:9] offset:720
	global_load_b128 v[213:216], v106, s[8:9] offset:704
	;; [unrolled: 1-line block ×4, first 2 shown]
	v_mul_lo_u16 v104, 0x6d, v164
	s_delay_alu instid0(VALU_DEP_1) | instskip(NEXT) | instid1(VALU_DEP_1)
	v_lshrrev_b16 v104, 8, v104
	v_sub_nc_u16 v105, v162, v104
	s_delay_alu instid0(VALU_DEP_1) | instskip(NEXT) | instid1(VALU_DEP_1)
	v_lshrrev_b16 v105, 1, v105
	v_and_b32_e32 v105, 0x7f, v105
	s_delay_alu instid0(VALU_DEP_1) | instskip(NEXT) | instid1(VALU_DEP_1)
	v_add_nc_u16 v104, v105, v104
	v_lshrrev_b16 v104, 5, v104
	s_delay_alu instid0(VALU_DEP_1) | instskip(NEXT) | instid1(VALU_DEP_1)
	v_mul_lo_u16 v104, v104, 45
	v_sub_nc_u16 v104, v162, v104
	s_delay_alu instid0(VALU_DEP_1) | instskip(NEXT) | instid1(VALU_DEP_1)
	v_and_b32_e32 v145, 0xff, v104
	v_mul_u32_u24_e32 v104, 6, v145
	s_delay_alu instid0(VALU_DEP_1)
	v_lshlrev_b32_e32 v104, 4, v104
	s_clause 0x5
	global_load_b128 v[108:111], v104, s[8:9] offset:672
	global_load_b128 v[120:123], v104, s[8:9] offset:688
	;; [unrolled: 1-line block ×6, first 2 shown]
	global_wb scope:SCOPE_SE
	s_wait_loadcnt_dscnt 0x0
	s_barrier_signal -1
	s_barrier_wait -1
	global_inv scope:SCOPE_SE
	v_mul_f64_e32 v[235:236], v[102:103], v[175:176]
	v_mul_f64_e32 v[237:238], v[78:79], v[179:180]
	;; [unrolled: 1-line block ×22, first 2 shown]
	v_fma_f64 v[64:65], v[64:65], v[136:137], -v[225:226]
	v_fma_f64 v[136:137], v[92:93], v[136:137], v[138:139]
	v_fma_f64 v[44:45], v[44:45], v[146:147], -v[227:228]
	v_fma_f64 v[92:93], v[96:97], v[146:147], v[148:149]
	v_mul_f64_e32 v[96:97], v[98:99], v[211:212]
	v_mul_f64_e32 v[146:147], v[46:47], v[211:212]
	v_fma_f64 v[68:69], v[68:69], v[150:151], -v[229:230]
	v_fma_f64 v[100:101], v[100:101], v[150:151], v[152:153]
	v_mul_f64_e32 v[148:149], v[70:71], v[175:176]
	v_mul_f64_e32 v[150:151], v[60:61], v[183:184]
	;; [unrolled: 4-line block ×3, first 2 shown]
	v_fma_f64 v[18:19], v[66:67], v[169:170], -v[233:234]
	v_mul_f64_e32 v[166:167], v[62:63], v[187:188]
	v_mul_f64_e32 v[175:176], v[36:37], v[215:216]
	v_fma_f64 v[66:67], v[70:71], v[173:174], -v[235:236]
	v_mul_f64_e32 v[183:184], v[52:53], v[203:204]
	v_mul_f64_e32 v[187:188], v[38:39], v[219:220]
	v_fma_f64 v[70:71], v[34:35], v[177:178], -v[237:238]
	v_fma_f64 v[60:61], v[60:61], v[181:182], -v[239:240]
	;; [unrolled: 1-line block ×3, first 2 shown]
	v_mul_f64_e32 v[191:192], v[58:59], v[195:196]
	v_mul_f64_e32 v[195:196], v[32:33], v[223:224]
	v_fma_f64 v[62:63], v[56:57], v[189:190], -v[243:244]
	v_fma_f64 v[56:57], v[58:59], v[193:194], -v[245:246]
	v_mul_f64_e32 v[203:204], v[86:87], v[219:220]
	v_fma_f64 v[58:59], v[132:133], v[197:198], -v[247:248]
	v_mul_f64_e32 v[211:212], v[76:77], v[223:224]
	v_fma_f64 v[52:53], v[52:53], v[201:202], -v[249:250]
	v_fma_f64 v[54:55], v[54:55], v[205:206], -v[251:252]
	v_fma_f64 v[82:83], v[82:83], v[205:206], v[207:208]
	v_fma_f64 v[132:133], v[78:79], v[177:178], v[179:180]
	;; [unrolled: 1-line block ×3, first 2 shown]
	v_fma_f64 v[46:47], v[46:47], v[209:210], -v[96:97]
	v_fma_f64 v[78:79], v[98:99], v[209:210], v[146:147]
	v_fma_f64 v[96:97], v[102:103], v[173:174], v[148:149]
	;; [unrolled: 1-line block ×3, first 2 shown]
	v_add_f64_e32 v[102:103], v[26:27], v[68:69]
	v_add_f64_e64 v[168:169], v[138:139], -v[100:101]
	v_fma_f64 v[88:89], v[88:89], v[189:190], v[152:153]
	v_fma_f64 v[36:37], v[36:37], v[213:214], -v[164:165]
	v_fma_f64 v[74:75], v[74:75], v[185:186], v[166:167]
	v_fma_f64 v[72:73], v[84:85], v[213:214], v[175:176]
	;; [unrolled: 1-line block ×4, first 2 shown]
	v_add_f64_e32 v[146:147], v[64:65], v[70:71]
	v_add_f64_e32 v[148:149], v[60:61], v[66:67]
	v_fma_f64 v[86:87], v[90:91], v[193:194], v[191:192]
	v_fma_f64 v[76:77], v[76:77], v[221:222], v[195:196]
	v_add_f64_e32 v[150:151], v[18:19], v[62:63]
	v_fma_f64 v[90:91], v[134:135], v[197:198], v[199:200]
	v_fma_f64 v[38:39], v[38:39], v[217:218], -v[203:204]
	v_add_f64_e32 v[134:135], v[34:35], v[58:59]
	v_fma_f64 v[32:33], v[32:33], v[221:222], -v[211:212]
	v_add_f64_e32 v[152:153], v[52:53], v[56:57]
	v_add_f64_e32 v[170:171], v[54:55], v[44:45]
	v_add_f64_e64 v[166:167], v[92:93], -v[82:83]
	v_add_f64_e64 v[164:165], v[136:137], -v[132:133]
	;; [unrolled: 1-line block ×4, first 2 shown]
	v_add_f64_e32 v[184:185], v[36:37], v[46:47]
	v_add_f64_e64 v[176:177], v[78:79], -v[72:73]
	v_add_f64_e32 v[174:175], v[146:147], v[102:103]
	v_add_f64_e64 v[180:181], v[84:85], -v[86:87]
	v_add_f64_e64 v[182:183], v[76:77], -v[80:81]
	v_add_f64_e32 v[186:187], v[150:151], v[148:149]
	v_add_f64_e64 v[188:189], v[74:75], -v[90:91]
	v_add_f64_e32 v[190:191], v[38:39], v[32:33]
	v_add_f64_e32 v[192:193], v[152:153], v[134:135]
	v_add_f64_e64 v[198:199], v[102:103], -v[170:171]
	v_add_f64_e64 v[200:201], v[170:171], -v[146:147]
	;; [unrolled: 1-line block ×4, first 2 shown]
	v_add_f64_e32 v[164:165], v[166:167], v[164:165]
	v_add_f64_e64 v[102:103], v[146:147], -v[102:103]
	v_add_f64_e64 v[166:167], v[168:169], -v[166:167]
	;; [unrolled: 1-line block ×5, first 2 shown]
	v_add_f64_e32 v[146:147], v[176:177], v[172:173]
	v_add_f64_e32 v[170:171], v[170:171], v[174:175]
	v_add_f64_e64 v[174:175], v[176:177], -v[172:173]
	v_add_f64_e64 v[176:177], v[178:179], -v[176:177]
	;; [unrolled: 1-line block ×3, first 2 shown]
	v_add_f64_e32 v[186:187], v[184:185], v[186:187]
	v_add_f64_e64 v[184:185], v[184:185], -v[150:151]
	v_add_f64_e64 v[208:209], v[180:181], -v[188:189]
	v_add_f64_e32 v[172:173], v[182:183], v[180:181]
	v_add_f64_e64 v[210:211], v[134:135], -v[190:191]
	v_add_f64_e32 v[192:193], v[190:191], v[192:193]
	v_add_f64_e64 v[190:191], v[190:191], -v[152:153]
	v_mul_f64_e32 v[198:199], s[14:15], v[198:199]
	v_mul_f64_e32 v[180:181], s[12:13], v[194:195]
	;; [unrolled: 1-line block ×3, first 2 shown]
	v_add_f64_e64 v[182:183], v[188:189], -v[182:183]
	v_add_f64_e64 v[134:135], v[152:153], -v[134:135]
	v_mul_f64_e32 v[212:213], s[10:11], v[200:201]
	v_add_f64_e32 v[164:165], v[164:165], v[168:169]
	v_mul_f64_e32 v[214:215], s[4:5], v[202:203]
	v_mul_f64_e32 v[206:207], s[14:15], v[206:207]
	v_add_f64_e32 v[146:147], v[146:147], v[178:179]
	v_add_f64_e32 v[28:29], v[28:29], v[170:171]
	v_mul_f64_e32 v[174:175], s[12:13], v[174:175]
	v_mul_f64_e32 v[204:205], s[12:13], v[204:205]
	v_add_f64_e32 v[30:31], v[30:31], v[186:187]
	v_mul_f64_e32 v[150:151], s[10:11], v[184:185]
	v_mul_f64_e32 v[216:217], s[4:5], v[208:209]
	v_add_f64_e32 v[168:169], v[172:173], v[188:189]
	v_mul_f64_e32 v[210:211], s[14:15], v[210:211]
	v_add_f64_e32 v[24:25], v[24:25], v[192:193]
	v_mul_f64_e32 v[152:153], s[10:11], v[190:191]
	v_fma_f64 v[188:189], v[102:103], s[22:23], -v[198:199]
	v_fma_f64 v[172:173], v[196:197], s[4:5], -v[180:181]
	v_fma_f64 v[178:179], v[166:167], s[24:25], v[180:181]
	s_wait_alu 0xfffe
	v_fma_f64 v[166:167], v[166:167], s[20:21], -v[194:195]
	v_fma_f64 v[180:181], v[200:201], s[10:11], v[198:199]
	v_fma_f64 v[102:103], v[102:103], s[16:17], -v[212:213]
	v_mul_f64_e32 v[212:213], v[130:131], v[106:107]
	v_fma_f64 v[184:185], v[184:185], s[10:11], v[206:207]
	v_fma_f64 v[198:199], v[148:149], s[22:23], -v[206:207]
	v_mul_f64_e32 v[206:207], v[4:5], v[114:115]
	v_fma_f64 v[170:171], v[170:171], s[18:19], v[28:29]
	v_fma_f64 v[194:195], v[202:203], s[4:5], -v[174:175]
	v_fma_f64 v[174:175], v[176:177], s[24:25], v[174:175]
	v_fma_f64 v[176:177], v[176:177], s[20:21], -v[214:215]
	v_fma_f64 v[196:197], v[182:183], s[24:25], v[204:205]
	v_fma_f64 v[186:187], v[186:187], s[18:19], v[30:31]
	v_fma_f64 v[148:149], v[148:149], s[16:17], -v[150:151]
	v_fma_f64 v[150:151], v[208:209], s[4:5], -v[204:205]
	;; [unrolled: 1-line block ×3, first 2 shown]
	v_fma_f64 v[190:191], v[190:191], s[10:11], v[210:211]
	v_fma_f64 v[192:193], v[192:193], s[18:19], v[24:25]
	v_fma_f64 v[200:201], v[134:135], s[22:23], -v[210:211]
	v_fma_f64 v[134:135], v[134:135], s[16:17], -v[152:153]
	v_mul_f64_e32 v[152:153], v[50:51], v[110:111]
	v_mul_f64_e32 v[110:111], v[10:11], v[110:111]
	;; [unrolled: 1-line block ×9, first 2 shown]
	v_fma_f64 v[178:179], v[164:165], s[26:27], v[178:179]
	v_fma_f64 v[172:173], v[164:165], s[26:27], v[172:173]
	;; [unrolled: 1-line block ×3, first 2 shown]
	v_add_f64_e32 v[166:167], v[180:181], v[170:171]
	v_add_f64_e32 v[180:181], v[188:189], v[170:171]
	v_fma_f64 v[174:175], v[146:147], s[26:27], v[174:175]
	v_fma_f64 v[188:189], v[146:147], s[26:27], v[194:195]
	;; [unrolled: 1-line block ×3, first 2 shown]
	v_add_f64_e32 v[176:177], v[184:185], v[186:187]
	v_add_f64_e32 v[184:185], v[198:199], v[186:187]
	;; [unrolled: 1-line block ×3, first 2 shown]
	v_fma_f64 v[186:187], v[168:169], s[26:27], v[196:197]
	v_fma_f64 v[150:151], v[168:169], s[26:27], v[150:151]
	;; [unrolled: 1-line block ×3, first 2 shown]
	v_add_f64_e32 v[182:183], v[190:191], v[192:193]
	v_add_f64_e32 v[190:191], v[200:201], v[192:193]
	;; [unrolled: 1-line block ×3, first 2 shown]
	v_mul_f64_e32 v[192:193], v[128:129], v[106:107]
	v_add_f64_e32 v[170:171], v[102:103], v[170:171]
	v_fma_f64 v[102:103], v[10:11], v[108:109], -v[152:153]
	v_fma_f64 v[110:111], v[50:51], v[108:109], v[110:111]
	v_fma_f64 v[50:51], v[12:13], v[120:121], -v[202:203]
	v_fma_f64 v[114:115], v[40:41], v[120:121], v[122:123]
	;; [unrolled: 2-line block ×5, first 2 shown]
	v_fma_f64 v[120:121], v[128:129], v[104:105], -v[212:213]
	v_and_b32_e32 v124, 0xffff, v141
	v_and_b32_e32 v125, 0xffff, v142
	s_wait_alu 0xf1ff
	v_cndmask_b32_e64 v126, 0, 0x9d8, s1
	v_lshlrev_b32_e32 v127, 3, v140
	v_lshlrev_b32_e32 v140, 3, v143
	;; [unrolled: 1-line block ×3, first 2 shown]
	v_add_f64_e32 v[0:1], v[178:179], v[166:167]
	v_add_f64_e32 v[2:3], v[164:165], v[180:181]
	v_add_f64_e64 v[10:11], v[180:181], -v[164:165]
	v_add_f64_e64 v[12:13], v[166:167], -v[178:179]
	v_add_f64_e32 v[14:15], v[174:175], v[176:177]
	v_add_f64_e32 v[40:41], v[146:147], v[184:185]
	v_add_f64_e64 v[42:43], v[148:149], -v[188:189]
	v_add_f64_e32 v[128:129], v[188:189], v[148:149]
	v_add_f64_e64 v[146:147], v[184:185], -v[146:147]
	v_add_f64_e64 v[148:149], v[176:177], -v[174:175]
	v_add_f64_e32 v[152:153], v[186:187], v[182:183]
	v_add_f64_e32 v[164:165], v[168:169], v[190:191]
	v_add_f64_e64 v[166:167], v[134:135], -v[150:151]
	v_fma_f64 v[104:105], v[130:131], v[104:105], v[192:193]
	v_add_f64_e64 v[4:5], v[170:171], -v[172:173]
	v_add_f64_e32 v[6:7], v[172:173], v[170:171]
	v_add_f64_e32 v[134:135], v[150:151], v[134:135]
	v_add_f64_e64 v[150:151], v[190:191], -v[168:169]
	v_add_f64_e64 v[168:169], v[182:183], -v[186:187]
	v_mul_u32_u24_e32 v130, 0x9d8, v124
	v_mul_u32_u24_e32 v131, 0x9d8, v125
	v_add3_u32 v125, 0, v126, v127
	v_lshl_add_u32 v124, v145, 3, 0
	s_delay_alu instid0(VALU_DEP_4) | instskip(NEXT) | instid1(VALU_DEP_4)
	v_add3_u32 v127, 0, v130, v140
	v_add3_u32 v126, 0, v131, v141
	ds_store_2addr_b64 v125, v[28:29], v[0:1] offset1:45
	ds_store_2addr_b64 v125, v[2:3], v[4:5] offset0:90 offset1:135
	ds_store_2addr_b64 v125, v[6:7], v[10:11] offset0:180 offset1:225
	ds_store_b64 v125, v[12:13] offset:2160
	ds_store_2addr_b64 v127, v[30:31], v[14:15] offset1:45
	ds_store_2addr_b64 v127, v[40:41], v[42:43] offset0:90 offset1:135
	ds_store_2addr_b64 v127, v[128:129], v[146:147] offset0:180 offset1:225
	ds_store_b64 v127, v[148:149] offset:2160
	ds_store_2addr_b64 v126, v[24:25], v[152:153] offset1:45
	ds_store_2addr_b64 v126, v[164:165], v[166:167] offset0:90 offset1:135
	ds_store_2addr_b64 v126, v[134:135], v[150:151] offset0:180 offset1:225
	ds_store_b64 v126, v[168:169] offset:2160
	s_and_saveexec_b32 s1, s0
	s_cbranch_execz .LBB0_33
; %bb.32:
	v_add_f64_e32 v[0:1], v[50:51], v[118:119]
	v_add_f64_e32 v[2:3], v[102:103], v[120:121]
	v_add_f64_e64 v[4:5], v[112:113], -v[116:117]
	v_add_f64_e64 v[6:7], v[114:115], -v[122:123]
	v_add_f64_e32 v[10:11], v[106:107], v[108:109]
	v_add_f64_e64 v[12:13], v[110:111], -v[104:105]
	v_add_f64_e32 v[14:15], v[0:1], v[2:3]
	s_delay_alu instid0(VALU_DEP_4) | instskip(NEXT) | instid1(VALU_DEP_4)
	v_add_f64_e64 v[24:25], v[4:5], -v[6:7]
	v_add_f64_e64 v[28:29], v[2:3], -v[10:11]
	s_delay_alu instid0(VALU_DEP_4)
	v_add_f64_e64 v[30:31], v[6:7], -v[12:13]
	v_add_f64_e32 v[6:7], v[4:5], v[6:7]
	v_add_f64_e64 v[4:5], v[12:13], -v[4:5]
	v_add_f64_e32 v[14:15], v[10:11], v[14:15]
	v_add_f64_e64 v[10:11], v[10:11], -v[0:1]
	v_add_f64_e64 v[0:1], v[0:1], -v[2:3]
	v_mul_f64_e32 v[2:3], s[12:13], v[24:25]
	v_mul_f64_e32 v[24:25], s[14:15], v[28:29]
	;; [unrolled: 1-line block ×3, first 2 shown]
	v_add_f64_e32 v[6:7], v[6:7], v[12:13]
	v_add_f64_e32 v[8:9], v[8:9], v[14:15]
	v_mul_f64_e32 v[40:41], s[10:11], v[10:11]
	v_fma_f64 v[12:13], v[4:5], s[24:25], v[2:3]
	v_fma_f64 v[10:11], v[10:11], s[10:11], v[24:25]
	v_fma_f64 v[42:43], v[0:1], s[22:23], -v[24:25]
	v_fma_f64 v[4:5], v[4:5], s[20:21], -v[28:29]
	v_fma_f64 v[2:3], v[30:31], s[4:5], -v[2:3]
	v_fma_f64 v[14:15], v[14:15], s[18:19], v[8:9]
	v_fma_f64 v[0:1], v[0:1], s[16:17], -v[40:41]
	v_fma_f64 v[12:13], v[6:7], s[26:27], v[12:13]
	v_fma_f64 v[4:5], v[6:7], s[26:27], v[4:5]
	;; [unrolled: 1-line block ×3, first 2 shown]
	v_add_f64_e32 v[10:11], v[10:11], v[14:15]
	v_add_f64_e32 v[6:7], v[42:43], v[14:15]
	;; [unrolled: 1-line block ×3, first 2 shown]
	s_delay_alu instid0(VALU_DEP_3) | instskip(NEXT) | instid1(VALU_DEP_3)
	v_add_f64_e32 v[28:29], v[12:13], v[10:11]
	v_add_f64_e64 v[14:15], v[6:7], -v[4:5]
	s_delay_alu instid0(VALU_DEP_3)
	v_add_f64_e64 v[24:25], v[0:1], -v[2:3]
	v_add_f64_e32 v[4:5], v[4:5], v[6:7]
	v_add_f64_e32 v[0:1], v[2:3], v[0:1]
	v_add_f64_e64 v[2:3], v[10:11], -v[12:13]
	v_add_nc_u32_e32 v6, 0x2400, v124
	v_add_nc_u32_e32 v7, 0x2800, v124
	ds_store_2addr_b64 v6, v[8:9], v[28:29] offset0:108 offset1:153
	ds_store_2addr_b64 v7, v[4:5], v[24:25] offset0:70 offset1:115
	;; [unrolled: 1-line block ×3, first 2 shown]
	ds_store_b64 v124, v[2:3] offset:12240
.LBB0_33:
	s_wait_alu 0xfffe
	s_or_b32 exec_lo, exec_lo, s1
	v_add_f64_e32 v[0:1], v[138:139], v[100:101]
	v_add_f64_e32 v[2:3], v[136:137], v[132:133]
	;; [unrolled: 1-line block ×7, first 2 shown]
	v_add_f64_e64 v[14:15], v[64:65], -v[70:71]
	v_add_f64_e64 v[24:25], v[44:45], -v[54:55]
	;; [unrolled: 1-line block ×3, first 2 shown]
	v_add_f64_e32 v[30:31], v[72:73], v[78:79]
	v_add_f64_e64 v[18:19], v[18:19], -v[62:63]
	v_add_f64_e64 v[36:37], v[46:47], -v[36:37]
	;; [unrolled: 1-line block ×4, first 2 shown]
	v_add_f64_e32 v[46:47], v[80:81], v[76:77]
	v_add_f64_e64 v[32:33], v[32:33], -v[38:39]
	v_add_f64_e64 v[34:35], v[34:35], -v[58:59]
	global_wb scope:SCOPE_SE
	s_wait_dscnt 0x0
	s_barrier_signal -1
	s_barrier_wait -1
	global_inv scope:SCOPE_SE
	v_add_f64_e32 v[28:29], v[2:3], v[0:1]
	v_add_f64_e32 v[42:43], v[6:7], v[4:5]
	;; [unrolled: 1-line block ×3, first 2 shown]
	v_add_f64_e64 v[52:53], v[0:1], -v[12:13]
	v_add_f64_e64 v[54:55], v[12:13], -v[2:3]
	;; [unrolled: 1-line block ×8, first 2 shown]
	v_add_f64_e32 v[2:3], v[24:25], v[14:15]
	v_add_f64_e64 v[14:15], v[26:27], -v[24:25]
	v_add_f64_e64 v[66:67], v[32:33], -v[44:45]
	;; [unrolled: 1-line block ×3, first 2 shown]
	v_add_f64_e32 v[18:19], v[36:37], v[18:19]
	v_add_f64_e32 v[24:25], v[32:33], v[44:45]
	v_add_f64_e64 v[36:37], v[40:41], -v[36:37]
	v_add_f64_e32 v[12:13], v[12:13], v[28:29]
	v_add_f64_e64 v[28:29], v[4:5], -v[30:31]
	;; [unrolled: 2-line block ×4, first 2 shown]
	v_mul_f64_e32 v[44:45], s[14:15], v[52:53]
	v_add_f64_e64 v[4:5], v[6:7], -v[4:5]
	v_mul_f64_e32 v[6:7], s[12:13], v[56:57]
	v_mul_f64_e32 v[52:53], s[10:11], v[54:55]
	;; [unrolled: 1-line block ×5, first 2 shown]
	v_add_f64_e64 v[8:9], v[10:11], -v[8:9]
	v_add_f64_e32 v[2:3], v[2:3], v[26:27]
	v_add_f64_e32 v[70:71], v[20:21], v[12:13]
	v_mul_f64_e32 v[20:21], s[14:15], v[28:29]
	v_add_f64_e32 v[74:75], v[22:23], v[30:31]
	v_mul_f64_e32 v[28:29], s[10:11], v[60:61]
	v_add_f64_e64 v[22:23], v[34:35], -v[32:33]
	v_mul_f64_e32 v[32:33], s[14:15], v[42:43]
	v_mul_f64_e32 v[42:43], s[12:13], v[66:67]
	v_add_f64_e32 v[76:77], v[16:17], v[38:39]
	v_mul_f64_e32 v[10:11], s[10:11], v[46:47]
	v_mul_f64_e32 v[66:67], s[4:5], v[68:69]
	v_add_f64_e32 v[16:17], v[18:19], v[40:41]
	v_add_f64_e32 v[18:19], v[24:25], v[34:35]
	v_fma_f64 v[24:25], v[54:55], s[10:11], v[44:45]
	v_fma_f64 v[34:35], v[14:15], s[24:25], v[6:7]
	v_fma_f64 v[26:27], v[0:1], s[16:17], -v[52:53]
	v_fma_f64 v[0:1], v[0:1], s[22:23], -v[44:45]
	;; [unrolled: 1-line block ×4, first 2 shown]
	v_fma_f64 v[44:45], v[36:37], s[24:25], v[62:63]
	v_fma_f64 v[52:53], v[64:65], s[4:5], -v[62:63]
	v_fma_f64 v[36:37], v[36:37], s[20:21], -v[72:73]
	v_fma_f64 v[12:13], v[12:13], s[18:19], v[70:71]
	v_fma_f64 v[40:41], v[60:61], s[10:11], v[20:21]
	;; [unrolled: 1-line block ×3, first 2 shown]
	v_fma_f64 v[28:29], v[4:5], s[16:17], -v[28:29]
	v_fma_f64 v[4:5], v[4:5], s[22:23], -v[20:21]
	v_fma_f64 v[20:21], v[46:47], s[10:11], v[32:33]
	v_fma_f64 v[46:47], v[22:23], s[24:25], v[42:43]
	v_fma_f64 v[42:43], v[68:69], s[4:5], -v[42:43]
	v_fma_f64 v[38:39], v[38:39], s[18:19], v[76:77]
	v_fma_f64 v[32:33], v[8:9], s[22:23], -v[32:33]
	v_fma_f64 v[8:9], v[8:9], s[16:17], -v[10:11]
	;; [unrolled: 1-line block ×3, first 2 shown]
	v_fma_f64 v[10:11], v[2:3], s[26:27], v[34:35]
	v_fma_f64 v[6:7], v[2:3], s[26:27], v[6:7]
	;; [unrolled: 1-line block ×3, first 2 shown]
	v_add_f64_e32 v[24:25], v[24:25], v[12:13]
	v_add_f64_e32 v[34:35], v[0:1], v[12:13]
	v_add_f64_e32 v[12:13], v[26:27], v[12:13]
	v_fma_f64 v[26:27], v[16:17], s[26:27], v[44:45]
	v_fma_f64 v[44:45], v[16:17], s[26:27], v[52:53]
	;; [unrolled: 1-line block ×3, first 2 shown]
	v_add_f64_e32 v[36:37], v[40:41], v[30:31]
	v_add_f64_e32 v[4:5], v[4:5], v[30:31]
	v_add_f64_e32 v[28:29], v[28:29], v[30:31]
	v_fma_f64 v[30:31], v[18:19], s[26:27], v[46:47]
	v_fma_f64 v[40:41], v[18:19], s[26:27], v[42:43]
	v_add_f64_e32 v[20:21], v[20:21], v[38:39]
	v_add_f64_e32 v[8:9], v[8:9], v[38:39]
	v_fma_f64 v[18:19], v[18:19], s[26:27], v[22:23]
	v_add_f64_e32 v[22:23], v[32:33], v[38:39]
	v_add_nc_u32_e32 v32, 0x400, v159
	v_add_nc_u32_e32 v33, 0x1000, v159
	;; [unrolled: 1-line block ×3, first 2 shown]
	ds_load_2addr_b64 v[0:3], v159 offset1:63
	v_add_f64_e64 v[52:53], v[24:25], -v[10:11]
	v_add_f64_e64 v[54:55], v[34:35], -v[14:15]
	v_add_f64_e32 v[56:57], v[6:7], v[12:13]
	v_add_f64_e64 v[58:59], v[12:13], -v[6:7]
	v_add_f64_e32 v[60:61], v[14:15], v[34:35]
	v_add_f64_e32 v[62:63], v[10:11], v[24:25]
	v_add_f64_e64 v[64:65], v[36:37], -v[26:27]
	v_add_f64_e64 v[66:67], v[4:5], -v[16:17]
	v_add_f64_e32 v[68:69], v[44:45], v[28:29]
	v_add_f64_e64 v[72:73], v[28:29], -v[44:45]
	v_add_f64_e32 v[78:79], v[16:17], v[4:5]
	v_add_f64_e32 v[80:81], v[26:27], v[36:37]
	v_add_f64_e64 v[82:83], v[20:21], -v[30:31]
	v_add_f64_e32 v[86:87], v[40:41], v[8:9]
	v_add_f64_e64 v[88:89], v[8:9], -v[40:41]
	v_add_f64_e32 v[92:93], v[30:31], v[20:21]
	v_add_nc_u32_e32 v20, 0x2400, v159
	v_add_nc_u32_e32 v24, 0x800, v159
	;; [unrolled: 1-line block ×7, first 2 shown]
	v_add_f64_e64 v[84:85], v[22:23], -v[18:19]
	v_add_f64_e32 v[90:91], v[18:19], v[22:23]
	ds_load_2addr_b64 v[4:7], v159 offset0:126 offset1:189
	ds_load_b64 v[146:147], v159 offset:12096
	ds_load_2addr_b64 v[8:11], v32 offset0:124 offset1:187
	ds_load_2addr_b64 v[12:15], v33 offset0:118 offset1:181
	;; [unrolled: 1-line block ×10, first 2 shown]
	global_wb scope:SCOPE_SE
	s_wait_dscnt 0x0
	s_barrier_signal -1
	s_barrier_wait -1
	global_inv scope:SCOPE_SE
	ds_store_2addr_b64 v125, v[70:71], v[52:53] offset1:45
	ds_store_2addr_b64 v125, v[54:55], v[56:57] offset0:90 offset1:135
	ds_store_2addr_b64 v125, v[58:59], v[60:61] offset0:180 offset1:225
	ds_store_b64 v125, v[62:63] offset:2160
	ds_store_2addr_b64 v127, v[74:75], v[64:65] offset1:45
	ds_store_2addr_b64 v127, v[66:67], v[68:69] offset0:90 offset1:135
	ds_store_2addr_b64 v127, v[72:73], v[78:79] offset0:180 offset1:225
	ds_store_b64 v127, v[80:81] offset:2160
	;; [unrolled: 4-line block ×3, first 2 shown]
	s_and_saveexec_b32 s1, s0
	s_cbranch_execz .LBB0_35
; %bb.34:
	v_add_f64_e32 v[52:53], v[110:111], v[104:105]
	v_add_f64_e32 v[54:55], v[114:115], v[122:123]
	;; [unrolled: 1-line block ×3, first 2 shown]
	v_add_f64_e64 v[50:51], v[50:51], -v[118:119]
	v_add_f64_e64 v[58:59], v[108:109], -v[106:107]
	v_add_f64_e64 v[60:61], v[102:103], -v[120:121]
	s_mov_b32 s4, 0x37e14327
	s_mov_b32 s5, 0x3fe948f6
	;; [unrolled: 1-line block ×6, first 2 shown]
	v_add_f64_e32 v[62:63], v[54:55], v[52:53]
	v_add_f64_e64 v[64:65], v[52:53], -v[56:57]
	v_add_f64_e64 v[66:67], v[56:57], -v[54:55]
	;; [unrolled: 1-line block ×5, first 2 shown]
	v_add_f64_e32 v[50:51], v[58:59], v[50:51]
	v_add_f64_e64 v[54:55], v[60:61], -v[58:59]
	v_add_f64_e32 v[56:57], v[56:57], v[62:63]
	s_wait_alu 0xfffe
	v_mul_f64_e32 v[58:59], s[4:5], v[64:65]
	s_mov_b32 s4, 0x429ad128
	v_mul_f64_e32 v[64:65], s[12:13], v[68:69]
	s_mov_b32 s5, 0x3febfeb5
	v_mul_f64_e32 v[62:63], s[10:11], v[66:67]
	s_wait_alu 0xfffe
	v_mul_f64_e32 v[68:69], s[4:5], v[70:71]
	s_mov_b32 s12, 0xaaaaaaaa
	s_mov_b32 s13, 0xbff2aaaa
	v_add_f64_e32 v[50:51], v[50:51], v[60:61]
	v_add_f64_e32 v[48:49], v[48:49], v[56:57]
	v_fma_f64 v[60:61], v[66:67], s[10:11], v[58:59]
	v_fma_f64 v[66:67], v[54:55], s[16:17], v[64:65]
	s_mov_b32 s17, 0xbfd5d0dc
	v_fma_f64 v[62:63], v[52:53], s[14:15], -v[62:63]
	s_mov_b32 s15, 0xbfe77f67
	v_fma_f64 v[64:65], v[70:71], s[4:5], -v[64:65]
	s_wait_alu 0xfffe
	v_fma_f64 v[54:55], v[54:55], s[16:17], -v[68:69]
	v_fma_f64 v[52:53], v[52:53], s[14:15], -v[58:59]
	s_mov_b32 s4, 0x37c3f68c
	s_mov_b32 s5, 0x3fdc38aa
	v_fma_f64 v[56:57], v[56:57], s[12:13], v[48:49]
	s_wait_alu 0xfffe
	v_fma_f64 v[58:59], v[50:51], s[4:5], v[66:67]
	v_fma_f64 v[64:65], v[50:51], s[4:5], v[64:65]
	;; [unrolled: 1-line block ×3, first 2 shown]
	s_delay_alu instid0(VALU_DEP_4) | instskip(SKIP_2) | instid1(VALU_DEP_3)
	v_add_f64_e32 v[54:55], v[60:61], v[56:57]
	v_add_f64_e32 v[52:53], v[52:53], v[56:57]
	;; [unrolled: 1-line block ×3, first 2 shown]
	v_add_f64_e64 v[60:61], v[54:55], -v[58:59]
	s_delay_alu instid0(VALU_DEP_3) | instskip(NEXT) | instid1(VALU_DEP_3)
	v_add_f64_e64 v[62:63], v[52:53], -v[50:51]
	v_add_f64_e32 v[66:67], v[64:65], v[56:57]
	v_add_f64_e64 v[56:57], v[56:57], -v[64:65]
	v_add_f64_e32 v[50:51], v[50:51], v[52:53]
	v_add_f64_e32 v[52:53], v[58:59], v[54:55]
	v_add_nc_u32_e32 v54, 0x2400, v124
	v_add_nc_u32_e32 v55, 0x2800, v124
	ds_store_2addr_b64 v54, v[48:49], v[60:61] offset0:108 offset1:153
	ds_store_2addr_b64 v55, v[62:63], v[66:67] offset0:70 offset1:115
	;; [unrolled: 1-line block ×3, first 2 shown]
	ds_store_b64 v124, v[52:53] offset:12240
.LBB0_35:
	s_wait_alu 0xfffe
	s_or_b32 exec_lo, exec_lo, s1
	global_wb scope:SCOPE_SE
	s_wait_dscnt 0x0
	s_barrier_signal -1
	s_barrier_wait -1
	global_inv scope:SCOPE_SE
	s_and_saveexec_b32 s0, vcc_lo
	s_cbranch_execz .LBB0_37
; %bb.36:
	v_dual_mov_b32 v145, 0 :: v_dual_lshlrev_b32 v144, 2, v163
	v_add_nc_u32_e32 v136, 0x1800, v159
	v_mul_hi_u32 v164, 0xa01a01a1, v158
	v_lshlrev_b64_e32 v[152:153], 4, v[154:155]
	v_add_nc_u32_e32 v155, 63, v158
	v_mov_b32_e32 v173, v145
	v_lshlrev_b64_e32 v[48:49], 4, v[144:145]
	v_lshlrev_b32_e32 v144, 2, v162
	v_dual_mov_b32 v154, v145 :: v_dual_add_nc_u32 v137, 0xc00, v159
	v_dual_mov_b32 v163, v145 :: v_dual_add_nc_u32 v138, 0x2000, v159
	v_mov_b32_e32 v177, v145
	s_delay_alu instid0(VALU_DEP_4) | instskip(SKIP_4) | instid1(VALU_DEP_3)
	v_lshlrev_b64_e32 v[54:55], 4, v[144:145]
	v_lshlrev_b32_e32 v144, 2, v161
	v_add_co_u32 v52, vcc_lo, s8, v48
	s_wait_alu 0xfffd
	v_add_co_ci_u32_e32 v53, vcc_lo, s9, v49, vcc_lo
	v_lshlrev_b64_e32 v[56:57], 4, v[144:145]
	v_add_co_u32 v54, vcc_lo, s8, v54
	s_wait_alu 0xfffd
	v_add_co_ci_u32_e32 v55, vcc_lo, s9, v55, vcc_lo
	s_clause 0x1
	global_load_b128 v[48:51], v[52:53], off offset:5040
	global_load_b128 v[68:71], v[52:53], off offset:4992
	v_add_co_u32 v56, vcc_lo, s8, v56
	s_wait_alu 0xfffd
	v_add_co_ci_u32_e32 v57, vcc_lo, s9, v57, vcc_lo
	s_clause 0x8
	global_load_b128 v[64:67], v[52:53], off offset:5008
	global_load_b128 v[60:63], v[52:53], off offset:5024
	;; [unrolled: 1-line block ×9, first 2 shown]
	v_dual_mov_b32 v165, v145 :: v_dual_lshlrev_b32 v144, 2, v160
	global_load_b128 v[108:111], v[56:57], off offset:5040
	v_mov_b32_e32 v167, v145
	v_add_nc_u32_e32 v139, 0x400, v159
	v_lshlrev_b64_e32 v[52:53], 4, v[144:145]
	v_lshlrev_b32_e32 v144, 2, v158
	v_mul_lo_u32 v148, s2, v157
	v_add_nc_u32_e32 v149, 0x1400, v159
	v_add_nc_u32_e32 v157, 0x800, v159
	v_mad_co_u64_u32 v[150:151], null, s2, v156, 0
	v_lshlrev_b64_e32 v[54:55], 4, v[144:145]
	v_add_co_u32 v52, vcc_lo, s8, v52
	s_wait_alu 0xfffd
	v_add_co_ci_u32_e32 v53, vcc_lo, s9, v53, vcc_lo
	s_clause 0x2
	global_load_b128 v[96:99], v[52:53], off offset:5024
	global_load_b128 v[104:107], v[52:53], off offset:5008
	;; [unrolled: 1-line block ×3, first 2 shown]
	v_add_co_u32 v54, vcc_lo, s8, v54
	s_wait_alu 0xfffd
	v_add_co_ci_u32_e32 v55, vcc_lo, s9, v55, vcc_lo
	s_clause 0x4
	global_load_b128 v[116:119], v[52:53], off offset:5040
	global_load_b128 v[120:123], v[54:55], off offset:5008
	;; [unrolled: 1-line block ×5, first 2 shown]
	v_mul_lo_u32 v144, s3, v156
	ds_load_b64 v[174:175], v159 offset:12096
	v_dual_mov_b32 v179, v145 :: v_dual_add_nc_u32 v156, 0x2800, v159
	ds_load_2addr_b64 v[56:59], v159 offset0:126 offset1:189
	v_add_nc_u32_e32 v160, 0x1c00, v159
	v_add_nc_u32_e32 v161, 0x1000, v159
	;; [unrolled: 1-line block ×3, first 2 shown]
	ds_load_2addr_b64 v[52:55], v159 offset1:63
	ds_load_2addr_b64 v[140:143], v136 offset0:114 offset1:177
	ds_load_2addr_b64 v[182:185], v137 offset0:120 offset1:183
	;; [unrolled: 1-line block ×10, first 2 shown]
	v_mul_hi_u32 v157, 0xa01a01a1, v155
	v_sub_nc_u32_e32 v162, v158, v164
	v_add_nc_u32_e32 v166, 0x7e, v158
	v_add_nc_u32_e32 v168, 0xbd, v158
	;; [unrolled: 1-line block ×3, first 2 shown]
	v_add3_u32 v151, v151, v148, v144
	v_lshrrev_b32_e32 v148, 1, v162
	v_mul_hi_u32 v160, 0xa01a01a1, v166
	v_sub_nc_u32_e32 v162, v155, v157
	v_mul_hi_u32 v161, 0xa01a01a1, v168
	v_mul_hi_u32 v144, 0xa01a01a1, v169
	v_lshlrev_b64_e32 v[150:151], 4, v[150:151]
	v_add_nc_u32_e32 v148, v148, v164
	v_lshrrev_b32_e32 v162, 1, v162
	v_mov_b32_e32 v156, v145
	v_sub_nc_u32_e32 v170, v166, v160
	v_mov_b32_e32 v159, v145
	v_sub_nc_u32_e32 v171, v168, v161
	v_sub_nc_u32_e32 v172, v169, v144
	v_add_nc_u32_e32 v157, v162, v157
	v_lshrrev_b32_e32 v164, 1, v170
	v_add_co_u32 v150, vcc_lo, s6, v150
	v_lshrrev_b32_e32 v170, 1, v171
	v_lshrrev_b32_e32 v171, 1, v172
	;; [unrolled: 1-line block ×3, first 2 shown]
	s_wait_alu 0xfffd
	v_add_co_ci_u32_e32 v151, vcc_lo, s7, v151, vcc_lo
	v_lshrrev_b32_e32 v148, 8, v148
	v_add_nc_u32_e32 v144, v171, v144
	v_add_co_u32 v180, vcc_lo, v150, v152
	v_mul_u32_u24_e32 v150, 0x13b, v157
	v_add_nc_u32_e32 v160, v164, v160
	v_add_nc_u32_e32 v161, v170, v161
	v_mul_u32_u24_e32 v148, 0x13b, v148
	v_lshrrev_b32_e32 v220, 8, v144
	v_sub_nc_u32_e32 v144, v155, v150
	v_lshrrev_b32_e32 v152, 8, v160
	s_wait_alu 0xfffd
	v_add_co_ci_u32_e32 v181, vcc_lo, v151, v153, vcc_lo
	v_lshrrev_b32_e32 v172, 8, v161
	v_sub_nc_u32_e32 v148, v158, v148
	v_mul_u32_u24_e32 v153, 0x13b, v220
	v_mad_u32_u24 v144, 0x627, v157, v144
	v_mul_u32_u24_e32 v150, 0x13b, v152
	v_mul_u32_u24_e32 v151, 0x13b, v172
	v_lshlrev_b32_e32 v148, 4, v148
	v_sub_nc_u32_e32 v221, v169, v153
	v_add_nc_u32_e32 v153, 0x13b, v144
	v_lshlrev_b64_e32 v[160:161], 4, v[144:145]
	v_sub_nc_u32_e32 v162, v166, v150
	v_add_nc_u32_e32 v155, 0x276, v144
	v_add_nc_u32_e32 v158, 0x3b1, v144
	;; [unrolled: 1-line block ×3, first 2 shown]
	v_sub_nc_u32_e32 v176, v168, v151
	v_add_co_u32 v150, vcc_lo, v180, v148
	v_lshlrev_b64_e32 v[168:169], 4, v[153:154]
	s_wait_alu 0xfffd
	v_add_co_ci_u32_e32 v151, vcc_lo, 0, v181, vcc_lo
	v_lshlrev_b64_e32 v[156:157], 4, v[155:156]
	v_lshlrev_b64_e32 v[170:171], 4, v[144:145]
	v_mad_u32_u24 v144, 0x627, v152, v162
	v_add_co_u32 v152, vcc_lo, v180, v160
	s_wait_alu 0xfffd
	v_add_co_ci_u32_e32 v153, vcc_lo, v181, v161, vcc_lo
	v_lshlrev_b64_e32 v[158:159], 4, v[158:159]
	v_add_co_u32 v154, vcc_lo, v180, v168
	s_wait_alu 0xfffd
	v_add_co_ci_u32_e32 v155, vcc_lo, v181, v169, vcc_lo
	v_add_co_u32 v156, vcc_lo, v180, v156
	v_add_nc_u32_e32 v162, 0x13b, v144
	s_wait_alu 0xfffd
	v_add_co_ci_u32_e32 v157, vcc_lo, v181, v157, vcc_lo
	v_lshlrev_b64_e32 v[214:215], 4, v[144:145]
	v_add_co_u32 v158, vcc_lo, v180, v158
	v_add_nc_u32_e32 v164, 0x276, v144
	s_wait_alu 0xfffd
	v_add_co_ci_u32_e32 v159, vcc_lo, v181, v159, vcc_lo
	v_add_nc_u32_e32 v166, 0x3b1, v144
	v_add_nc_u32_e32 v144, 0x4ec, v144
	v_add_co_u32 v160, vcc_lo, v180, v170
	v_lshlrev_b64_e32 v[168:169], 4, v[162:163]
	s_wait_alu 0xfffd
	v_add_co_ci_u32_e32 v161, vcc_lo, v181, v171, vcc_lo
	v_lshlrev_b64_e32 v[170:171], 4, v[164:165]
	v_add_co_u32 v162, vcc_lo, v180, v214
	v_lshlrev_b64_e32 v[218:219], 4, v[144:145]
	v_mad_u32_u24 v144, 0x627, v172, v176
	s_wait_alu 0xfffd
	v_add_co_ci_u32_e32 v163, vcc_lo, v181, v215, vcc_lo
	v_lshlrev_b64_e32 v[216:217], 4, v[166:167]
	v_add_co_u32 v164, vcc_lo, v180, v168
	s_wait_alu 0xfffd
	v_add_co_ci_u32_e32 v165, vcc_lo, v181, v169, vcc_lo
	v_add_co_u32 v166, vcc_lo, v180, v170
	v_add_nc_u32_e32 v172, 0x13b, v144
	s_wait_alu 0xfffd
	v_add_co_ci_u32_e32 v167, vcc_lo, v181, v171, vcc_lo
	v_lshlrev_b64_e32 v[214:215], 4, v[144:145]
	v_add_co_u32 v168, vcc_lo, v180, v216
	v_add_nc_u32_e32 v176, 0x276, v144
	v_add_nc_u32_e32 v178, 0x3b1, v144
	;; [unrolled: 1-line block ×3, first 2 shown]
	s_wait_alu 0xfffd
	v_add_co_ci_u32_e32 v169, vcc_lo, v181, v217, vcc_lo
	v_add_co_u32 v170, vcc_lo, v180, v218
	v_lshlrev_b64_e32 v[216:217], 4, v[172:173]
	s_wait_alu 0xfffd
	v_add_co_ci_u32_e32 v171, vcc_lo, v181, v219, vcc_lo
	v_lshlrev_b64_e32 v[172:173], 4, v[144:145]
	v_mad_u32_u24 v144, 0x627, v220, v221
	v_lshlrev_b64_e32 v[218:219], 4, v[176:177]
	s_mov_b32 s8, 0x134454ff
	s_mov_b32 s9, 0xbfee6f0e
	;; [unrolled: 1-line block ×3, first 2 shown]
	s_wait_alu 0xfffe
	s_mov_b32 s10, s8
	s_mov_b32 s2, 0x4755a5e
	;; [unrolled: 1-line block ×4, first 2 shown]
	s_wait_alu 0xfffe
	s_mov_b32 s4, s2
	s_mov_b32 s0, 0x372fe950
	;; [unrolled: 1-line block ×3, first 2 shown]
	v_lshlrev_b64_e32 v[178:179], 4, v[178:179]
	v_dual_mov_b32 v149, v145 :: v_dual_add_nc_u32 v148, 0x13b, v144
	s_wait_loadcnt_dscnt 0x130c
	v_mul_f64_e32 v[220:221], v[48:49], v[174:175]
	v_mul_f64_e32 v[222:223], v[50:51], v[174:175]
	v_add_co_u32 v174, vcc_lo, v180, v214
	s_wait_alu 0xfffd
	v_add_co_ci_u32_e32 v175, vcc_lo, v181, v215, vcc_lo
	v_add_co_u32 v176, vcc_lo, v180, v216
	s_wait_loadcnt_dscnt 0x1208
	v_mul_f64_e32 v[214:215], v[68:69], v[184:185]
	v_mul_f64_e32 v[184:185], v[70:71], v[184:185]
	s_wait_alu 0xfffd
	v_add_co_ci_u32_e32 v177, vcc_lo, v181, v217, vcc_lo
	s_wait_loadcnt 0x11
	v_mul_f64_e32 v[216:217], v[64:65], v[140:141]
	v_mul_f64_e32 v[140:141], v[66:67], v[140:141]
	s_wait_loadcnt_dscnt 0x1007
	v_mul_f64_e32 v[224:225], v[60:61], v[188:189]
	v_mul_f64_e32 v[188:189], v[62:63], v[188:189]
	s_wait_loadcnt 0xf
	v_mul_f64_e32 v[226:227], v[84:85], v[182:183]
	v_mul_f64_e32 v[182:183], v[86:87], v[182:183]
	s_wait_loadcnt_dscnt 0xe05
	v_mul_f64_e32 v[228:229], v[76:77], v[192:193]
	s_wait_loadcnt 0xd
	v_mul_f64_e32 v[230:231], v[72:73], v[186:187]
	s_wait_loadcnt_dscnt 0xc04
	v_mul_f64_e32 v[232:233], v[80:81], v[196:197]
	v_mul_f64_e32 v[196:197], v[82:83], v[196:197]
	;; [unrolled: 1-line block ×4, first 2 shown]
	s_wait_loadcnt 0xa
	v_mul_f64_e32 v[234:235], v[92:93], v[190:191]
	s_wait_loadcnt_dscnt 0x903
	v_mul_f64_e32 v[236:237], v[100:101], v[200:201]
	s_wait_dscnt 0x2
	v_mul_f64_e32 v[238:239], v[88:89], v[204:205]
	s_wait_loadcnt 0x8
	v_mul_f64_e32 v[240:241], v[108:109], v[194:195]
	v_mul_f64_e32 v[194:195], v[110:111], v[194:195]
	;; [unrolled: 1-line block ×5, first 2 shown]
	s_wait_loadcnt_dscnt 0x601
	v_mul_f64_e32 v[242:243], v[104:105], v[208:209]
	s_wait_loadcnt 0x5
	v_mul_f64_e32 v[244:245], v[112:113], v[198:199]
	v_mul_f64_e32 v[198:199], v[114:115], v[198:199]
	;; [unrolled: 1-line block ×5, first 2 shown]
	v_fma_f64 v[50:51], v[146:147], v[50:51], v[220:221]
	v_fma_f64 v[48:49], v[146:147], v[48:49], -v[222:223]
	s_wait_loadcnt_dscnt 0x400
	v_mul_f64_e32 v[146:147], v[116:117], v[212:213]
	s_wait_loadcnt 0x3
	v_mul_f64_e32 v[220:221], v[120:121], v[206:207]
	s_wait_loadcnt 0x0
	v_mul_f64_e32 v[222:223], v[124:125], v[142:143]
	v_mul_f64_e32 v[206:207], v[122:123], v[206:207]
	;; [unrolled: 1-line block ×4, first 2 shown]
	v_fma_f64 v[70:71], v[46:47], v[70:71], v[214:215]
	v_fma_f64 v[68:69], v[46:47], v[68:69], -v[184:185]
	v_mul_f64_e32 v[184:185], v[132:133], v[138:139]
	v_mul_f64_e32 v[214:215], v[128:129], v[210:211]
	;; [unrolled: 1-line block ×4, first 2 shown]
	v_fma_f64 v[66:67], v[16:17], v[66:67], v[216:217]
	v_fma_f64 v[64:65], v[16:17], v[64:65], -v[140:141]
	v_fma_f64 v[62:63], v[42:43], v[62:63], v[224:225]
	v_fma_f64 v[60:61], v[42:43], v[60:61], -v[188:189]
	;; [unrolled: 2-line block ×3, first 2 shown]
	v_fma_f64 v[78:79], v[34:35], v[78:79], v[228:229]
	v_fma_f64 v[74:75], v[40:41], v[74:75], v[230:231]
	;; [unrolled: 1-line block ×3, first 2 shown]
	v_fma_f64 v[38:39], v[38:39], v[80:81], -v[196:197]
	v_fma_f64 v[76:77], v[34:35], v[76:77], -v[192:193]
	;; [unrolled: 1-line block ×3, first 2 shown]
	v_fma_f64 v[72:73], v[32:33], v[94:95], v[234:235]
	v_fma_f64 v[80:81], v[30:31], v[102:103], v[236:237]
	;; [unrolled: 1-line block ×4, first 2 shown]
	v_fma_f64 v[82:83], v[30:31], v[100:101], -v[200:201]
	v_fma_f64 v[30:31], v[36:37], v[108:109], -v[194:195]
	;; [unrolled: 1-line block ×4, first 2 shown]
	v_fma_f64 v[88:89], v[14:15], v[106:107], v[242:243]
	v_fma_f64 v[92:93], v[28:29], v[114:115], v[244:245]
	;; [unrolled: 1-line block ×3, first 2 shown]
	v_fma_f64 v[94:95], v[28:29], v[112:113], -v[198:199]
	v_fma_f64 v[98:99], v[14:15], v[104:105], -v[208:209]
	;; [unrolled: 1-line block ×3, first 2 shown]
	v_fma_f64 v[26:27], v[22:23], v[118:119], v[146:147]
	v_fma_f64 v[96:97], v[12:13], v[122:123], v[220:221]
	;; [unrolled: 1-line block ×3, first 2 shown]
	v_fma_f64 v[104:105], v[12:13], v[120:121], -v[206:207]
	v_fma_f64 v[12:13], v[18:19], v[124:125], -v[142:143]
	;; [unrolled: 1-line block ×3, first 2 shown]
	v_add_f64_e32 v[118:119], v[70:71], v[136:137]
	v_add_f64_e64 v[18:19], v[68:69], -v[48:49]
	v_fma_f64 v[100:101], v[10:11], v[134:135], v[184:185]
	v_fma_f64 v[14:15], v[20:21], v[130:131], v[214:215]
	v_add_f64_e32 v[124:125], v[68:69], v[48:49]
	v_fma_f64 v[102:103], v[10:11], v[132:133], -v[138:139]
	v_fma_f64 v[10:11], v[20:21], v[128:129], -v[210:211]
	v_add_f64_e64 v[106:107], v[66:67], -v[70:71]
	v_add_f64_e64 v[108:109], v[62:63], -v[50:51]
	;; [unrolled: 1-line block ×7, first 2 shown]
	v_add_f64_e32 v[68:69], v[8:9], v[68:69]
	v_add_f64_e64 v[132:133], v[78:79], -v[86:87]
	v_add_f64_e32 v[134:135], v[86:87], v[42:43]
	v_add_f64_e32 v[138:139], v[78:79], v[74:75]
	v_add_f64_e64 v[140:141], v[74:75], -v[42:43]
	v_add_f64_e32 v[146:147], v[84:85], v[38:39]
	v_add_f64_e32 v[182:183], v[76:77], v[46:47]
	v_add_f64_e64 v[192:193], v[84:85], -v[76:77]
	v_add_f64_e64 v[194:195], v[38:39], -v[46:47]
	v_add_f64_e32 v[198:199], v[80:81], v[34:35]
	v_add_f64_e32 v[200:201], v[72:73], v[40:41]
	;; [unrolled: 1-line block ×6, first 2 shown]
	v_add_co_u32 v16, vcc_lo, v180, v218
	v_add_f64_e64 v[122:123], v[60:61], -v[48:49]
	v_add_f64_e32 v[196:197], v[6:7], v[84:85]
	s_wait_alu 0xfffd
	v_add_co_ci_u32_e32 v17, vcc_lo, v181, v219, vcc_lo
	v_add_f64_e64 v[20:21], v[64:65], -v[60:61]
	v_add_f64_e64 v[36:37], v[66:67], -v[62:63]
	v_add_f64_e32 v[130:131], v[64:65], v[60:61]
	v_add_f64_e64 v[142:143], v[86:87], -v[78:79]
	v_add_f64_e64 v[184:185], v[42:43], -v[74:75]
	v_add_f64_e32 v[186:187], v[86:87], v[58:59]
	v_add_f64_e64 v[188:189], v[76:77], -v[84:85]
	v_add_f64_e64 v[190:191], v[46:47], -v[38:39]
	v_add_f64_e32 v[218:219], v[80:81], v[56:57]
	v_add_f64_e64 v[224:225], v[82:83], -v[90:91]
	v_add_f64_e64 v[226:227], v[30:31], -v[44:45]
	v_add_f64_e32 v[228:229], v[4:5], v[82:83]
	v_add_f64_e32 v[106:107], v[106:107], v[108:109]
	v_add_f64_e64 v[108:109], v[100:101], -v[96:97]
	v_add_f64_e32 v[112:113], v[112:113], v[114:115]
	v_add_f64_e64 v[114:115], v[14:15], -v[28:29]
	v_add_f64_e32 v[66:67], v[66:67], v[118:119]
	v_add_f64_e32 v[118:119], v[96:97], v[28:29]
	;; [unrolled: 1-line block ×3, first 2 shown]
	v_fma_f64 v[134:135], v[134:135], -0.5, v[58:59]
	v_fma_f64 v[58:59], v[138:139], -0.5, v[58:59]
	v_add_f64_e64 v[128:129], v[104:105], -v[102:103]
	v_fma_f64 v[146:147], v[146:147], -0.5, v[6:7]
	v_fma_f64 v[6:7], v[182:183], -0.5, v[6:7]
	v_add_f64_e32 v[64:65], v[64:65], v[68:69]
	v_add_f64_e64 v[68:69], v[12:13], -v[10:11]
	v_fma_f64 v[138:139], v[198:199], -0.5, v[56:57]
	v_fma_f64 v[56:57], v[200:201], -0.5, v[56:57]
	v_add_f64_e64 v[200:201], v[96:97], -v[100:101]
	v_fma_f64 v[182:183], v[206:207], -0.5, v[4:5]
	v_fma_f64 v[4:5], v[208:209], -0.5, v[4:5]
	v_add_f64_e64 v[206:207], v[28:29], -v[14:15]
	v_add_f64_e32 v[208:209], v[100:101], v[14:15]
	v_add_f64_e32 v[132:133], v[132:133], v[140:141]
	;; [unrolled: 1-line block ×5, first 2 shown]
	v_add_f64_e64 v[214:215], v[80:81], -v[72:73]
	v_add_f64_e64 v[216:217], v[34:35], -v[40:41]
	v_add_f64_e32 v[234:235], v[92:93], v[26:27]
	v_add_f64_e32 v[198:199], v[2:3], v[94:95]
	;; [unrolled: 1-line block ×3, first 2 shown]
	v_fma_f64 v[110:111], v[110:111], -0.5, v[136:137]
	v_fma_f64 v[116:117], v[116:117], -0.5, v[136:137]
	v_add_f64_e32 v[136:137], v[94:95], v[22:23]
	v_add_f64_e32 v[250:251], v[98:99], v[24:25]
	v_add_f64_e64 v[220:221], v[90:91], -v[82:83]
	v_add_f64_e64 v[222:223], v[44:45], -v[30:31]
	;; [unrolled: 1-line block ×5, first 2 shown]
	v_add_f64_e32 v[242:243], v[92:93], v[54:55]
	v_add_f64_e32 v[120:121], v[120:121], v[122:123]
	;; [unrolled: 1-line block ×5, first 2 shown]
	v_add_f64_e64 v[70:71], v[70:71], -v[50:51]
	v_add_f64_e64 v[84:85], v[84:85], -v[38:39]
	;; [unrolled: 1-line block ×7, first 2 shown]
	v_fma_f64 v[124:125], v[124:125], -0.5, v[8:9]
	v_fma_f64 v[8:9], v[130:131], -0.5, v[8:9]
	v_add_f64_e32 v[142:143], v[142:143], v[184:185]
	v_add_f64_e64 v[184:185], v[102:103], -v[104:105]
	v_add_f64_e32 v[188:189], v[188:189], v[190:191]
	v_add_f64_e64 v[190:191], v[10:11], -v[12:13]
	;; [unrolled: 2-line block ×3, first 2 shown]
	v_add_f64_e64 v[102:103], v[102:103], -v[10:11]
	v_add_f64_e32 v[224:225], v[224:225], v[226:227]
	v_add_f64_e64 v[226:227], v[104:105], -v[12:13]
	v_add_f64_e64 v[100:101], v[100:101], -v[14:15]
	v_add_f64_e32 v[200:201], v[200:201], v[206:207]
	v_fma_f64 v[206:207], v[208:209], -0.5, v[52:53]
	v_add_f64_e32 v[108:109], v[108:109], v[114:115]
	v_fma_f64 v[52:53], v[118:119], -0.5, v[52:53]
	;; [unrolled: 2-line block ×3, first 2 shown]
	v_fma_f64 v[0:1], v[194:195], -0.5, v[0:1]
	v_add_f64_e64 v[244:245], v[98:99], -v[94:95]
	v_add_f64_e64 v[248:249], v[94:95], -v[98:99]
	v_add_f64_e32 v[214:215], v[214:215], v[216:217]
	v_add_f64_e64 v[216:217], v[98:99], -v[24:25]
	v_add_f64_e32 v[90:91], v[90:91], v[228:229]
	;; [unrolled: 2-line block ×3, first 2 shown]
	v_fma_f64 v[198:199], v[234:235], -0.5, v[54:55]
	v_add_f64_e64 v[82:83], v[82:83], -v[30:31]
	v_add_f64_e64 v[94:95], v[94:95], -v[22:23]
	v_fma_f64 v[54:55], v[240:241], -0.5, v[54:55]
	v_add_f64_e64 v[92:93], v[92:93], -v[26:27]
	v_fma_f64 v[136:137], v[136:137], -0.5, v[2:3]
	v_fma_f64 v[2:3], v[250:251], -0.5, v[2:3]
	v_add_f64_e64 v[246:247], v[24:25], -v[22:23]
	v_add_f64_e32 v[220:221], v[220:221], v[222:223]
	v_add_f64_e64 v[222:223], v[88:89], -v[32:33]
	v_add_f64_e64 v[80:81], v[80:81], -v[34:35]
	v_add_f64_e32 v[210:211], v[210:211], v[212:213]
	v_add_f64_e64 v[212:213], v[72:73], -v[40:41]
	v_add_f64_e32 v[72:73], v[72:73], v[218:219]
	;; [unrolled: 2-line block ×3, first 2 shown]
	v_add_f64_e32 v[96:97], v[96:97], v[122:123]
	v_add_f64_e32 v[104:105], v[104:105], v[196:197]
	;; [unrolled: 1-line block ×5, first 2 shown]
	v_fma_f64 v[128:129], v[18:19], s[10:11], v[116:117]
	v_add_f64_e32 v[140:141], v[62:63], v[66:67]
	v_fma_f64 v[62:63], v[36:37], s[10:11], v[124:125]
	v_fma_f64 v[66:67], v[36:37], s[8:9], v[124:125]
	v_fma_f64 v[124:125], v[70:71], s[8:9], v[8:9]
	v_fma_f64 v[8:9], v[70:71], s[10:11], v[8:9]
	v_add_f64_e32 v[184:185], v[64:65], v[60:61]
	v_fma_f64 v[60:61], v[202:203], s[8:9], v[134:135]
	v_fma_f64 v[64:65], v[202:203], s[10:11], v[134:135]
	v_fma_f64 v[134:135], v[84:85], s[10:11], v[58:59]
	;; [unrolled: 5-line block ×3, first 2 shown]
	v_fma_f64 v[206:207], v[226:227], s[10:11], v[206:207]
	v_fma_f64 v[236:237], v[102:103], s[10:11], v[52:53]
	;; [unrolled: 1-line block ×14, first 2 shown]
	v_add_f64_e64 v[130:131], v[22:23], -v[24:25]
	v_fma_f64 v[54:55], v[94:95], s[8:9], v[54:55]
	v_fma_f64 v[242:243], v[92:93], s[10:11], v[2:3]
	v_add_f64_e32 v[232:233], v[244:245], v[246:247]
	v_fma_f64 v[244:245], v[222:223], s[8:9], v[136:137]
	v_fma_f64 v[136:137], v[222:223], s[10:11], v[136:137]
	;; [unrolled: 1-line block ×4, first 2 shown]
	v_add_f64_e32 v[44:45], v[90:91], v[44:45]
	v_fma_f64 v[90:91], v[80:81], s[10:11], v[4:5]
	v_add_f64_e32 v[40:41], v[40:41], v[72:73]
	v_fma_f64 v[72:73], v[212:213], s[10:11], v[182:183]
	v_fma_f64 v[182:183], v[212:213], s[8:9], v[182:183]
	;; [unrolled: 1-line block ×3, first 2 shown]
	v_add_f64_e32 v[46:47], v[76:77], v[46:47]
	v_fma_f64 v[76:77], v[86:87], s[10:11], v[6:7]
	v_fma_f64 v[78:79], v[204:205], s[10:11], v[146:147]
	;; [unrolled: 1-line block ×4, first 2 shown]
	v_add_f64_e32 v[32:33], v[32:33], v[88:89]
	v_add_f64_e32 v[28:29], v[28:29], v[96:97]
	;; [unrolled: 1-line block ×3, first 2 shown]
	v_fma_f64 v[104:105], v[20:21], s[2:3], v[128:129]
	s_wait_alu 0xfffe
	v_fma_f64 v[124:125], v[36:37], s[4:5], v[124:125]
	v_fma_f64 v[8:9], v[36:37], s[2:3], v[8:9]
	;; [unrolled: 1-line block ×5, first 2 shown]
	v_add_f64_e32 v[2:3], v[42:43], v[74:75]
	v_fma_f64 v[42:43], v[82:83], s[2:3], v[190:191]
	v_fma_f64 v[58:59], v[82:83], s[4:5], v[138:139]
	;; [unrolled: 1-line block ×6, first 2 shown]
	v_add_f64_e32 v[24:25], v[98:99], v[24:25]
	v_fma_f64 v[96:97], v[18:19], s[2:3], v[122:123]
	v_fma_f64 v[98:99], v[18:19], s[4:5], v[110:111]
	;; [unrolled: 1-line block ×14, first 2 shown]
	v_add_f64_e32 v[130:131], v[248:249], v[130:131]
	v_fma_f64 v[190:191], v[216:217], s[4:5], v[54:55]
	v_fma_f64 v[194:195], v[222:223], s[2:3], v[242:243]
	;; [unrolled: 1-line block ×14, first 2 shown]
	v_add_f64_e32 v[12:13], v[14:15], v[28:29]
	v_add_f64_e32 v[10:11], v[88:89], v[10:11]
	v_add_f64_e32 v[6:7], v[34:35], v[40:41]
	v_fma_f64 v[40:41], v[210:211], s[0:1], v[58:59]
	v_add_f64_e32 v[4:5], v[44:45], v[30:31]
	v_add_f64_e32 v[20:21], v[26:27], v[32:33]
	v_fma_f64 v[78:79], v[108:109], s[0:1], v[52:53]
	v_fma_f64 v[76:77], v[118:119], s[0:1], v[102:103]
	v_add_f64_e32 v[18:19], v[24:25], v[22:23]
	v_fma_f64 v[28:29], v[132:133], s[0:1], v[60:61]
	v_add_f64_e32 v[0:1], v[46:47], v[38:39]
	v_fma_f64 v[24:25], v[132:133], s[0:1], v[36:37]
	v_fma_f64 v[36:37], v[210:211], s[0:1], v[42:43]
	v_add_f64_e32 v[50:51], v[50:51], v[140:141]
	v_fma_f64 v[32:33], v[142:143], s[0:1], v[62:63]
	v_fma_f64 v[58:59], v[218:219], s[0:1], v[70:71]
	;; [unrolled: 1-line block ×26, first 2 shown]
	v_add_f64_e32 v[48:49], v[184:185], v[48:49]
	v_fma_f64 v[94:95], v[106:107], s[0:1], v[96:97]
	v_fma_f64 v[98:99], v[106:107], s[0:1], v[98:99]
	;; [unrolled: 1-line block ×8, first 2 shown]
	v_add_co_u32 v14, vcc_lo, v180, v178
	s_wait_alu 0xfffd
	v_add_co_ci_u32_e32 v15, vcc_lo, v181, v179, vcc_lo
	s_clause 0x12
	global_store_b128 v[150:151], v[10:13], off
	global_store_b128 v[150:151], v[76:79], off offset:5040
	global_store_b128 v[150:151], v[68:71], off offset:10080
	;; [unrolled: 1-line block ×4, first 2 shown]
	global_store_b128 v[152:153], v[18:21], off
	global_store_b128 v[154:155], v[80:83], off
	global_store_b128 v[156:157], v[56:59], off
	global_store_b128 v[158:159], v[52:55], off
	global_store_b128 v[160:161], v[60:63], off
	global_store_b128 v[162:163], v[4:7], off
	global_store_b128 v[164:165], v[84:87], off
	global_store_b128 v[166:167], v[38:41], off
	global_store_b128 v[168:169], v[34:37], off
	global_store_b128 v[170:171], v[42:45], off
	global_store_b128 v[174:175], v[0:3], off
	global_store_b128 v[176:177], v[88:91], off
	global_store_b128 v[16:17], v[26:29], off
	global_store_b128 v[14:15], v[22:25], off
	v_mov_b32_e32 v7, v145
	v_lshlrev_b64_e32 v[0:1], 4, v[144:145]
	v_dual_mov_b32 v5, v145 :: v_dual_add_nc_u32 v4, 0x276, v144
	v_add_co_u32 v46, vcc_lo, v180, v172
	v_lshlrev_b64_e32 v[2:3], 4, v[148:149]
	v_add_nc_u32_e32 v6, 0x3b1, v144
	s_wait_alu 0xfffd
	v_add_co_ci_u32_e32 v47, vcc_lo, v181, v173, vcc_lo
	v_add_co_u32 v0, vcc_lo, v180, v0
	v_lshlrev_b64_e32 v[4:5], 4, v[4:5]
	v_add_nc_u32_e32 v144, 0x4ec, v144
	s_wait_alu 0xfffd
	v_add_co_ci_u32_e32 v1, vcc_lo, v181, v1, vcc_lo
	v_add_co_u32 v2, vcc_lo, v180, v2
	v_lshlrev_b64_e32 v[6:7], 4, v[6:7]
	s_wait_alu 0xfffd
	v_add_co_ci_u32_e32 v3, vcc_lo, v181, v3, vcc_lo
	v_add_co_u32 v4, vcc_lo, v180, v4
	v_lshlrev_b64_e32 v[8:9], 4, v[144:145]
	s_wait_alu 0xfffd
	v_add_co_ci_u32_e32 v5, vcc_lo, v181, v5, vcc_lo
	v_add_co_u32 v6, vcc_lo, v180, v6
	s_wait_alu 0xfffd
	v_add_co_ci_u32_e32 v7, vcc_lo, v181, v7, vcc_lo
	v_add_co_u32 v8, vcc_lo, v180, v8
	s_wait_alu 0xfffd
	v_add_co_ci_u32_e32 v9, vcc_lo, v181, v9, vcc_lo
	s_clause 0x5
	global_store_b128 v[46:47], v[30:33], off
	global_store_b128 v[0:1], v[48:51], off
	;; [unrolled: 1-line block ×6, first 2 shown]
.LBB0_37:
	s_nop 0
	s_sendmsg sendmsg(MSG_DEALLOC_VGPRS)
	s_endpgm
	.section	.rodata,"a",@progbits
	.p2align	6, 0x0
	.amdhsa_kernel fft_rtc_fwd_len1575_factors_3_3_5_7_5_wgs_63_tpt_63_halfLds_dp_op_CI_CI_unitstride_sbrr_dirReg
		.amdhsa_group_segment_fixed_size 0
		.amdhsa_private_segment_fixed_size 0
		.amdhsa_kernarg_size 104
		.amdhsa_user_sgpr_count 2
		.amdhsa_user_sgpr_dispatch_ptr 0
		.amdhsa_user_sgpr_queue_ptr 0
		.amdhsa_user_sgpr_kernarg_segment_ptr 1
		.amdhsa_user_sgpr_dispatch_id 0
		.amdhsa_user_sgpr_private_segment_size 0
		.amdhsa_wavefront_size32 1
		.amdhsa_uses_dynamic_stack 0
		.amdhsa_enable_private_segment 0
		.amdhsa_system_sgpr_workgroup_id_x 1
		.amdhsa_system_sgpr_workgroup_id_y 0
		.amdhsa_system_sgpr_workgroup_id_z 0
		.amdhsa_system_sgpr_workgroup_info 0
		.amdhsa_system_vgpr_workitem_id 0
		.amdhsa_next_free_vgpr 253
		.amdhsa_next_free_sgpr 39
		.amdhsa_reserve_vcc 1
		.amdhsa_float_round_mode_32 0
		.amdhsa_float_round_mode_16_64 0
		.amdhsa_float_denorm_mode_32 3
		.amdhsa_float_denorm_mode_16_64 3
		.amdhsa_fp16_overflow 0
		.amdhsa_workgroup_processor_mode 1
		.amdhsa_memory_ordered 1
		.amdhsa_forward_progress 0
		.amdhsa_round_robin_scheduling 0
		.amdhsa_exception_fp_ieee_invalid_op 0
		.amdhsa_exception_fp_denorm_src 0
		.amdhsa_exception_fp_ieee_div_zero 0
		.amdhsa_exception_fp_ieee_overflow 0
		.amdhsa_exception_fp_ieee_underflow 0
		.amdhsa_exception_fp_ieee_inexact 0
		.amdhsa_exception_int_div_zero 0
	.end_amdhsa_kernel
	.text
.Lfunc_end0:
	.size	fft_rtc_fwd_len1575_factors_3_3_5_7_5_wgs_63_tpt_63_halfLds_dp_op_CI_CI_unitstride_sbrr_dirReg, .Lfunc_end0-fft_rtc_fwd_len1575_factors_3_3_5_7_5_wgs_63_tpt_63_halfLds_dp_op_CI_CI_unitstride_sbrr_dirReg
                                        ; -- End function
	.section	.AMDGPU.csdata,"",@progbits
; Kernel info:
; codeLenInByte = 19236
; NumSgprs: 41
; NumVgprs: 253
; ScratchSize: 0
; MemoryBound: 1
; FloatMode: 240
; IeeeMode: 1
; LDSByteSize: 0 bytes/workgroup (compile time only)
; SGPRBlocks: 5
; VGPRBlocks: 31
; NumSGPRsForWavesPerEU: 41
; NumVGPRsForWavesPerEU: 253
; Occupancy: 5
; WaveLimiterHint : 1
; COMPUTE_PGM_RSRC2:SCRATCH_EN: 0
; COMPUTE_PGM_RSRC2:USER_SGPR: 2
; COMPUTE_PGM_RSRC2:TRAP_HANDLER: 0
; COMPUTE_PGM_RSRC2:TGID_X_EN: 1
; COMPUTE_PGM_RSRC2:TGID_Y_EN: 0
; COMPUTE_PGM_RSRC2:TGID_Z_EN: 0
; COMPUTE_PGM_RSRC2:TIDIG_COMP_CNT: 0
	.text
	.p2alignl 7, 3214868480
	.fill 96, 4, 3214868480
	.type	__hip_cuid_dbfa37877d5f1afd,@object ; @__hip_cuid_dbfa37877d5f1afd
	.section	.bss,"aw",@nobits
	.globl	__hip_cuid_dbfa37877d5f1afd
__hip_cuid_dbfa37877d5f1afd:
	.byte	0                               ; 0x0
	.size	__hip_cuid_dbfa37877d5f1afd, 1

	.ident	"AMD clang version 19.0.0git (https://github.com/RadeonOpenCompute/llvm-project roc-6.4.0 25133 c7fe45cf4b819c5991fe208aaa96edf142730f1d)"
	.section	".note.GNU-stack","",@progbits
	.addrsig
	.addrsig_sym __hip_cuid_dbfa37877d5f1afd
	.amdgpu_metadata
---
amdhsa.kernels:
  - .args:
      - .actual_access:  read_only
        .address_space:  global
        .offset:         0
        .size:           8
        .value_kind:     global_buffer
      - .offset:         8
        .size:           8
        .value_kind:     by_value
      - .actual_access:  read_only
        .address_space:  global
        .offset:         16
        .size:           8
        .value_kind:     global_buffer
      - .actual_access:  read_only
        .address_space:  global
        .offset:         24
        .size:           8
        .value_kind:     global_buffer
      - .actual_access:  read_only
        .address_space:  global
        .offset:         32
        .size:           8
        .value_kind:     global_buffer
      - .offset:         40
        .size:           8
        .value_kind:     by_value
      - .actual_access:  read_only
        .address_space:  global
        .offset:         48
        .size:           8
        .value_kind:     global_buffer
      - .actual_access:  read_only
        .address_space:  global
        .offset:         56
        .size:           8
        .value_kind:     global_buffer
      - .offset:         64
        .size:           4
        .value_kind:     by_value
      - .actual_access:  read_only
        .address_space:  global
        .offset:         72
        .size:           8
        .value_kind:     global_buffer
      - .actual_access:  read_only
        .address_space:  global
        .offset:         80
        .size:           8
        .value_kind:     global_buffer
      - .actual_access:  read_only
        .address_space:  global
        .offset:         88
        .size:           8
        .value_kind:     global_buffer
      - .actual_access:  write_only
        .address_space:  global
        .offset:         96
        .size:           8
        .value_kind:     global_buffer
    .group_segment_fixed_size: 0
    .kernarg_segment_align: 8
    .kernarg_segment_size: 104
    .language:       OpenCL C
    .language_version:
      - 2
      - 0
    .max_flat_workgroup_size: 63
    .name:           fft_rtc_fwd_len1575_factors_3_3_5_7_5_wgs_63_tpt_63_halfLds_dp_op_CI_CI_unitstride_sbrr_dirReg
    .private_segment_fixed_size: 0
    .sgpr_count:     41
    .sgpr_spill_count: 0
    .symbol:         fft_rtc_fwd_len1575_factors_3_3_5_7_5_wgs_63_tpt_63_halfLds_dp_op_CI_CI_unitstride_sbrr_dirReg.kd
    .uniform_work_group_size: 1
    .uses_dynamic_stack: false
    .vgpr_count:     253
    .vgpr_spill_count: 0
    .wavefront_size: 32
    .workgroup_processor_mode: 1
amdhsa.target:   amdgcn-amd-amdhsa--gfx1201
amdhsa.version:
  - 1
  - 2
...

	.end_amdgpu_metadata
